;; amdgpu-corpus repo=ROCm/rocFFT kind=compiled arch=gfx1201 opt=O3
	.text
	.amdgcn_target "amdgcn-amd-amdhsa--gfx1201"
	.amdhsa_code_object_version 6
	.protected	bluestein_single_back_len120_dim1_half_op_CI_CI ; -- Begin function bluestein_single_back_len120_dim1_half_op_CI_CI
	.globl	bluestein_single_back_len120_dim1_half_op_CI_CI
	.p2align	8
	.type	bluestein_single_back_len120_dim1_half_op_CI_CI,@function
bluestein_single_back_len120_dim1_half_op_CI_CI: ; @bluestein_single_back_len120_dim1_half_op_CI_CI
; %bb.0:
	s_load_b128 s[12:15], s[0:1], 0x28
	v_mul_u32_u24_e32 v1, 0x1556, v0
	s_mov_b32 s2, exec_lo
	s_delay_alu instid0(VALU_DEP_1) | instskip(NEXT) | instid1(VALU_DEP_1)
	v_lshrrev_b32_e32 v1, 16, v1
	v_mad_co_u64_u32 v[10:11], null, ttmp9, 5, v[1:2]
	v_mov_b32_e32 v11, 0
	s_wait_kmcnt 0x0
	s_delay_alu instid0(VALU_DEP_1)
	v_cmpx_gt_u64_e64 s[12:13], v[10:11]
	s_cbranch_execz .LBB0_15
; %bb.1:
	s_load_b128 s[8:11], s[0:1], 0x18
	v_mul_lo_u16 v1, v1, 12
	s_delay_alu instid0(VALU_DEP_1) | instskip(NEXT) | instid1(VALU_DEP_1)
	v_sub_nc_u16 v9, v0, v1
	v_and_b32_e32 v32, 0xffff, v9
	s_wait_kmcnt 0x0
	s_load_b128 s[4:7], s[8:9], 0x0
	s_load_b64 s[8:9], s[0:1], 0x0
	s_wait_kmcnt 0x0
	v_mad_co_u64_u32 v[0:1], null, s6, v10, 0
	v_mad_co_u64_u32 v[2:3], null, s4, v32, 0
	s_mul_u64 s[2:3], s[4:5], 0x50
	s_delay_alu instid0(VALU_DEP_1) | instskip(SKIP_4) | instid1(VALU_DEP_1)
	v_mad_co_u64_u32 v[4:5], null, s7, v10, v[1:2]
	s_mul_u64 s[6:7], s[4:5], 40
	s_wait_alu 0xfffe
	s_lshl_b64 s[12:13], s[6:7], 2
	s_load_b64 s[6:7], s[0:1], 0x38
	v_mov_b32_e32 v1, v4
	v_or_b32_e32 v25, 0x50, v32
	v_mad_co_u64_u32 v[7:8], null, s5, v32, v[3:4]
	v_or_b32_e32 v22, 32, v32
	s_delay_alu instid0(VALU_DEP_4) | instskip(NEXT) | instid1(VALU_DEP_4)
	v_lshlrev_b64_e32 v[0:1], 2, v[0:1]
	v_mad_co_u64_u32 v[5:6], null, s4, v25, 0
	v_lshlrev_b32_e32 v11, 2, v32
	s_delay_alu instid0(VALU_DEP_2) | instskip(NEXT) | instid1(VALU_DEP_1)
	v_dual_mov_b32 v3, v7 :: v_dual_mov_b32 v4, v6
	v_mad_co_u64_u32 v[6:7], null, s5, v25, v[4:5]
	s_delay_alu instid0(VALU_DEP_2) | instskip(SKIP_2) | instid1(VALU_DEP_2)
	v_lshlrev_b64_e32 v[7:8], 2, v[2:3]
	v_add_co_u32 v2, vcc_lo, s14, v0
	v_add_co_ci_u32_e32 v3, vcc_lo, s15, v1, vcc_lo
	v_add_co_u32 v0, vcc_lo, v2, v7
	s_wait_alu 0xfffd
	s_delay_alu instid0(VALU_DEP_2) | instskip(SKIP_1) | instid1(VALU_DEP_3)
	v_add_co_ci_u32_e32 v1, vcc_lo, v3, v8, vcc_lo
	v_lshlrev_b64_e32 v[4:5], 2, v[5:6]
	v_add_co_u32 v7, vcc_lo, v0, s2
	s_wait_alu 0xfffd
	s_delay_alu instid0(VALU_DEP_3)
	v_add_co_ci_u32_e32 v8, vcc_lo, s3, v1, vcc_lo
	global_load_b32 v12, v[0:1], off
	v_add_co_u32 v0, vcc_lo, v7, s2
	s_wait_alu 0xfffd
	v_add_co_ci_u32_e32 v1, vcc_lo, s3, v8, vcc_lo
	s_clause 0x5
	global_load_b32 v37, v11, s[8:9]
	global_load_b32 v35, v11, s[8:9] offset:80
	global_load_b32 v33, v11, s[8:9] offset:160
	;; [unrolled: 1-line block ×5, first 2 shown]
	s_clause 0x1
	global_load_b32 v13, v[7:8], off
	global_load_b32 v14, v[0:1], off
	v_add_co_u32 v6, vcc_lo, v0, s2
	s_wait_alu 0xfffd
	v_add_co_ci_u32_e32 v7, vcc_lo, s3, v1, vcc_lo
	v_add_co_u32 v4, vcc_lo, v2, v4
	s_wait_alu 0xfffd
	v_add_co_ci_u32_e32 v5, vcc_lo, v3, v5, vcc_lo
	;; [unrolled: 3-line block ×3, first 2 shown]
	s_clause 0x2
	global_load_b32 v6, v[6:7], off
	global_load_b32 v4, v[4:5], off
	;; [unrolled: 1-line block ×3, first 2 shown]
	v_mul_hi_u32 v7, 0xcccccccd, v10
	s_mov_b32 s2, 0
	s_load_b128 s[24:27], s[10:11], 0x0
	v_cmp_gt_u16_e32 vcc_lo, 8, v9
	s_delay_alu instid0(VALU_DEP_2) | instskip(NEXT) | instid1(VALU_DEP_1)
	v_lshrrev_b32_e32 v7, 2, v7
	v_lshl_add_u32 v7, v7, 2, v7
	s_delay_alu instid0(VALU_DEP_1) | instskip(NEXT) | instid1(VALU_DEP_1)
	v_sub_nc_u32_e32 v7, v10, v7
	v_mul_u32_u24_e32 v7, 0x78, v7
	s_delay_alu instid0(VALU_DEP_1)
	v_lshlrev_b32_e32 v39, 2, v7
	v_mov_b32_e32 v15, s2
	v_add_co_u32 v8, s2, s8, v11
	s_wait_alu 0xf1ff
	v_add_co_ci_u32_e64 v9, null, s9, 0, s2
	v_add_nc_u32_e32 v24, v11, v39
	s_wait_loadcnt 0xa
	v_lshrrev_b32_e32 v38, 16, v37
	v_lshrrev_b32_e32 v7, 16, v12
	s_wait_loadcnt 0x9
	v_lshrrev_b32_e32 v36, 16, v35
	s_wait_loadcnt 0x8
	;; [unrolled: 2-line block ×3, first 2 shown]
	v_lshrrev_b32_e32 v31, 16, v30
	v_mul_f16_e32 v11, v38, v12
	v_mul_f16_e32 v16, v38, v7
	s_wait_loadcnt 0x4
	v_lshrrev_b32_e32 v17, 16, v13
	s_wait_loadcnt 0x3
	v_lshrrev_b32_e32 v18, 16, v14
	v_mul_f16_e32 v19, v34, v14
	v_fma_f16 v7, v37, v7, -v11
	v_fmac_f16_e32 v16, v37, v12
	v_mul_f16_e32 v12, v36, v17
	v_mul_f16_e32 v11, v36, v13
	v_lshrrev_b32_e32 v29, 16, v28
	v_lshrrev_b32_e32 v27, 16, v26
	v_pack_b32_f16 v7, v16, v7
	v_fmac_f16_e32 v12, v35, v13
	v_mul_f16_e32 v13, v34, v18
	v_fma_f16 v11, v35, v17, -v11
	s_wait_loadcnt 0x2
	v_lshrrev_b32_e32 v17, 16, v6
	v_fma_f16 v16, v33, v18, -v19
	v_mul_f16_e32 v18, v31, v6
	s_wait_loadcnt 0x1
	v_lshrrev_b32_e32 v19, 16, v4
	v_fmac_f16_e32 v13, v33, v14
	s_wait_loadcnt 0x0
	v_lshrrev_b32_e32 v14, 16, v5
	v_mul_f16_e32 v21, v31, v17
	v_mul_f16_e32 v20, v29, v4
	v_fma_f16 v17, v30, v17, -v18
	v_mul_f16_e32 v18, v29, v19
	v_mul_f16_e32 v23, v27, v5
	;; [unrolled: 1-line block ×3, first 2 shown]
	v_fmac_f16_e32 v21, v30, v6
	v_fma_f16 v19, v28, v19, -v20
	v_fmac_f16_e32 v18, v28, v4
	v_fma_f16 v4, v26, v14, -v23
	v_fmac_f16_e32 v40, v26, v5
	v_pack_b32_f16 v5, v12, v11
	v_pack_b32_f16 v11, v21, v17
	v_or_b32_e32 v23, 0x48, v32
	v_or_b32_e32 v21, 0x70, v32
	v_pack_b32_f16 v6, v13, v16
	v_pack_b32_f16 v12, v18, v19
	;; [unrolled: 1-line block ×3, first 2 shown]
	ds_store_2addr_b32 v24, v7, v5 offset1:20
	ds_store_2addr_b32 v24, v6, v11 offset0:40 offset1:60
	ds_store_2addr_b32 v24, v12, v4 offset0:80 offset1:100
	s_and_saveexec_b32 s3, vcc_lo
	s_cbranch_execz .LBB0_3
; %bb.2:
	v_mad_co_u64_u32 v[4:5], null, s4, v22, 0
	v_mad_co_u64_u32 v[6:7], null, s4, v23, 0
	;; [unrolled: 1-line block ×3, first 2 shown]
	s_mul_i32 s2, s5, 0xfffffea0
	s_wait_alu 0xfffe
	s_sub_co_i32 s2, s2, s4
	s_delay_alu instid0(VALU_DEP_2) | instskip(SKIP_1) | instid1(VALU_DEP_4)
	v_mad_co_u64_u32 v[11:12], null, s5, v22, v[5:6]
	v_mad_co_u64_u32 v[12:13], null, s4, v21, 0
	;; [unrolled: 1-line block ×3, first 2 shown]
	s_wait_alu 0xfffe
	v_add_nc_u32_e32 v1, s2, v1
	v_add_co_u32 v17, s2, v0, s12
	v_mov_b32_e32 v5, v11
	v_mov_b32_e32 v11, v13
	s_wait_alu 0xf1ff
	v_add_co_ci_u32_e64 v18, s2, s13, v1, s2
	v_mov_b32_e32 v7, v16
	global_load_b32 v19, v[0:1], off
	global_load_b32 v20, v[17:18], off
	v_mad_co_u64_u32 v[13:14], null, s5, v21, v[11:12]
	v_lshlrev_b64_e32 v[0:1], 2, v[4:5]
	v_add_co_u32 v4, s2, v17, s12
	s_wait_alu 0xf1ff
	v_add_co_ci_u32_e64 v5, s2, s13, v18, s2
	s_clause 0x2
	global_load_b32 v11, v[8:9], off offset:48
	global_load_b32 v14, v[8:9], off offset:128
	;; [unrolled: 1-line block ×3, first 2 shown]
	v_lshlrev_b64_e32 v[6:7], 2, v[6:7]
	global_load_b32 v17, v[8:9], off offset:288
	global_load_b32 v18, v[4:5], off
	s_clause 0x1
	global_load_b32 v40, v[8:9], off offset:368
	global_load_b32 v41, v[8:9], off offset:448
	v_add_co_u32 v0, s2, v2, v0
	v_lshlrev_b64_e32 v[4:5], 2, v[12:13]
	s_wait_alu 0xf1ff
	v_add_co_ci_u32_e64 v1, s2, v3, v1, s2
	v_add_co_u32 v6, s2, v2, v6
	s_wait_alu 0xf1ff
	v_add_co_ci_u32_e64 v7, s2, v3, v7, s2
	v_add_co_u32 v2, s2, v2, v4
	s_wait_alu 0xf1ff
	v_add_co_ci_u32_e64 v3, s2, v3, v5, s2
	s_clause 0x2
	global_load_b32 v0, v[0:1], off
	global_load_b32 v1, v[6:7], off
	;; [unrolled: 1-line block ×3, first 2 shown]
	s_wait_loadcnt 0xb
	v_lshrrev_b32_e32 v6, 16, v19
	s_wait_loadcnt 0xa
	v_lshrrev_b32_e32 v43, 16, v20
	;; [unrolled: 2-line block ×6, first 2 shown]
	v_lshrrev_b32_e32 v7, 16, v17
	v_mul_f16_e32 v12, v3, v19
	v_mul_f16_e32 v3, v3, v6
	;; [unrolled: 1-line block ×4, first 2 shown]
	s_wait_loadcnt 0x3
	v_lshrrev_b32_e32 v42, 16, v41
	v_fma_f16 v6, v11, v6, -v12
	v_lshrrev_b32_e32 v12, 16, v18
	v_fmac_f16_e32 v3, v11, v19
	v_mul_f16_e32 v11, v13, v18
	v_fma_f16 v19, v16, v43, -v44
	v_fmac_f16_e32 v5, v16, v20
	v_mul_f16_e32 v13, v13, v12
	v_pack_b32_f16 v3, v3, v6
	v_fma_f16 v6, v40, v12, -v11
	s_wait_loadcnt 0x2
	v_lshrrev_b32_e32 v11, 16, v0
	s_wait_loadcnt 0x1
	v_lshrrev_b32_e32 v16, 16, v1
	v_mul_f16_e32 v12, v4, v0
	s_wait_loadcnt 0x0
	v_lshrrev_b32_e32 v20, 16, v2
	v_fmac_f16_e32 v13, v40, v18
	v_mul_f16_e32 v4, v4, v11
	v_mul_f16_e32 v18, v7, v1
	;; [unrolled: 1-line block ×4, first 2 shown]
	v_fma_f16 v11, v14, v11, -v12
	v_mul_f16_e32 v12, v42, v20
	v_fmac_f16_e32 v4, v14, v0
	v_fma_f16 v16, v17, v16, -v18
	v_fmac_f16_e32 v7, v17, v1
	v_fma_f16 v18, v41, v20, -v40
	v_fmac_f16_e32 v12, v41, v2
	v_pack_b32_f16 v2, v4, v11
	v_pack_b32_f16 v0, v5, v19
	;; [unrolled: 1-line block ×5, first 2 shown]
	ds_store_2addr_b32 v24, v3, v2 offset0:12 offset1:32
	ds_store_2addr_b32 v24, v0, v4 offset0:52 offset1:72
	;; [unrolled: 1-line block ×3, first 2 shown]
.LBB0_3:
	s_wait_alu 0xfffe
	s_or_b32 exec_lo, exec_lo, s3
	global_wb scope:SCOPE_SE
	s_wait_dscnt 0x0
	s_wait_kmcnt 0x0
	s_barrier_signal -1
	s_barrier_wait -1
	global_inv scope:SCOPE_SE
	ds_load_2addr_b32 v[6:7], v24 offset1:20
	ds_load_2addr_b32 v[11:12], v24 offset0:40 offset1:60
	ds_load_2addr_b32 v[13:14], v24 offset0:80 offset1:100
	s_load_b64 s[2:3], s[0:1], 0x8
                                        ; implicit-def: $vgpr1
                                        ; implicit-def: $vgpr5
                                        ; implicit-def: $vgpr3
	s_and_saveexec_b32 s0, vcc_lo
	s_cbranch_execz .LBB0_5
; %bb.4:
	ds_load_2addr_b32 v[2:3], v24 offset0:12 offset1:32
	ds_load_2addr_b32 v[4:5], v24 offset0:52 offset1:72
	;; [unrolled: 1-line block ×3, first 2 shown]
.LBB0_5:
	s_wait_alu 0xfffe
	s_or_b32 exec_lo, exec_lo, s0
	s_wait_dscnt 0x0
	v_pk_add_f16 v16, v1, v5
	v_pk_add_f16 v18, v5, v1 neg_lo:[0,1] neg_hi:[0,1]
	v_pk_add_f16 v48, v12, v14
	v_pk_add_f16 v19, v4, v0 neg_lo:[0,1] neg_hi:[0,1]
	v_pk_add_f16 v46, v7, v12
	v_pk_fma_f16 v16, v16, 0.5, v3 op_sel_hi:[1,0,1] neg_lo:[1,0,0] neg_hi:[1,0,0]
	v_pk_add_f16 v49, v12, v14 neg_lo:[0,1] neg_hi:[0,1]
	v_pk_fma_f16 v7, v48, 0.5, v7 op_sel_hi:[1,0,1] neg_lo:[1,0,0] neg_hi:[1,0,0]
	v_pk_add_f16 v43, v6, v11
	v_mul_lo_u16 v45, v32, 6
	v_pk_fma_f16 v20, 0x3aee, v18, v16 op_sel:[0,0,1] op_sel_hi:[0,1,0]
	v_pk_fma_f16 v41, 0x3aee, v18, v16 op_sel:[0,0,1] op_sel_hi:[0,1,0] neg_lo:[0,1,0] neg_hi:[0,1,0]
	v_pk_mul_f16 v18, 0x3aee, v19 op_sel_hi:[0,1]
	v_pk_fma_f16 v48, 0x3aee, v49, v7 op_sel:[0,0,1] op_sel_hi:[0,1,0]
	v_pk_fma_f16 v7, 0x3aee, v49, v7 op_sel:[0,0,1] op_sel_hi:[0,1,0] neg_lo:[0,1,0] neg_hi:[0,1,0]
	v_lshrrev_b32_e32 v47, 16, v20
	v_mul_f16_e32 v19, 0x3aee, v41
	v_pk_add_f16 v17, v0, v4
	v_pk_add_f16 v49, v11, v13
	v_pk_add_f16 v11, v11, v13 neg_lo:[0,1] neg_hi:[0,1]
	v_bfi_b32 v40, 0xffff, v20, v41
	v_mul_f16_e32 v20, 0xbaee, v47
	v_fmac_f16_e32 v19, 0.5, v47
	v_and_b32_e32 v47, 0xffff, v45
	v_pk_add_f16 v43, v43, v13
	v_bfi_b32 v13, 0xffff, v48, v7
	v_lshrrev_b32_e32 v48, 16, v48
	v_pk_fma_f16 v17, v17, 0.5, v2 op_sel_hi:[1,0,1] neg_lo:[1,0,0] neg_hi:[1,0,0]
	v_pk_fma_f16 v49, v49, 0.5, v6 op_sel_hi:[1,0,1] neg_lo:[1,0,0] neg_hi:[1,0,0]
	v_pk_mul_f16 v11, 0x3aee, v11 op_sel_hi:[0,1]
	v_pk_add_f16 v14, v46, v14
	v_lshl_add_u32 v46, v47, 2, v39
	v_pk_mul_f16 v47, v13, 0.5 op_sel_hi:[1,0]
	v_mul_f16_e32 v50, 0xbaee, v48
	v_pk_add_f16 v16, v18, v17 op_sel:[1,0] op_sel_hi:[0,1]
	v_pk_add_f16 v44, v17, v18 op_sel:[0,1] op_sel_hi:[1,0] neg_lo:[0,1] neg_hi:[0,1]
	v_pk_mul_f16 v18, v40, 0.5 op_sel_hi:[1,0]
	v_pk_add_f16 v51, v49, v11 op_sel:[0,1] op_sel_hi:[1,0] neg_lo:[0,1] neg_hi:[0,1]
	v_mul_f16_e32 v52, 0x3aee, v7
	v_pk_fma_f16 v13, 0xbaee3aee, v13, v47 op_sel:[0,0,1] op_sel_hi:[1,1,0] neg_lo:[0,0,1] neg_hi:[0,0,1]
	v_pk_add_f16 v11, v49, v11 op_sel:[0,1] op_sel_hi:[1,0]
	v_fmac_f16_e32 v50, 0.5, v7
	v_bfi_b32 v17, 0xffff, v44, v16
	v_pk_fma_f16 v18, 0xbaee3aee, v40, v18 op_sel:[0,0,1] op_sel_hi:[1,1,0] neg_lo:[0,0,1] neg_hi:[0,0,1]
	v_lshrrev_b32_e32 v7, 16, v51
	v_fmac_f16_e32 v52, 0.5, v48
	v_lshrrev_b32_e32 v47, 16, v13
	v_lshrrev_b32_e32 v48, 16, v11
	v_pack_b32_f16 v49, v50, v13
	v_add_co_u32 v42, null, v32, 12
	v_lshrrev_b32_e32 v40, 16, v44
	v_fmac_f16_e32 v20, 0.5, v41
	v_pk_add_f16 v41, v17, v18 neg_lo:[0,1] neg_hi:[0,1]
	v_bfi_b32 v53, 0xffff, v51, v11
	v_add_f16_e32 v54, v11, v52
	v_add_f16_e32 v7, v7, v50
	v_sub_f16_e32 v47, v48, v47
	v_pk_add_f16 v49, v51, v49 op_sel:[1,0] op_sel_hi:[0,1] neg_lo:[0,1] neg_hi:[0,1]
	v_sub_f16_e32 v11, v11, v52
	v_sub_f16_e32 v12, v16, v19
	;; [unrolled: 1-line block ×3, first 2 shown]
	v_lshrrev_b32_e32 v44, 16, v41
	v_pk_add_f16 v6, v43, v14
	v_pk_add_f16 v13, v53, v13
	v_pk_add_f16 v14, v43, v14 neg_lo:[0,1] neg_hi:[0,1]
	v_pack_b32_f16 v7, v54, v7
	v_mul_u32_u24_e32 v43, 6, v42
	v_alignbit_b32 v48, v47, v49, 16
	v_pack_b32_f16 v47, v11, v49
	global_wb scope:SCOPE_SE
	s_wait_kmcnt 0x0
	s_barrier_signal -1
	s_barrier_wait -1
	global_inv scope:SCOPE_SE
	ds_store_2addr_b64 v46, v[6:7], v[13:14] offset1:1
	ds_store_b64 v46, v[47:48] offset:16
	s_and_saveexec_b32 s0, vcc_lo
	s_cbranch_execz .LBB0_7
; %bb.6:
	v_pk_add_f16 v2, v4, v2
	v_pk_add_f16 v3, v5, v3
	v_add_f16_e32 v4, v40, v20
	v_add_f16_e32 v5, v16, v19
	v_lshl_add_u32 v7, v43, 2, v39
	v_pk_add_f16 v6, v0, v2
	v_pk_add_f16 v1, v1, v3
	;; [unrolled: 1-line block ×3, first 2 shown]
	v_pack_b32_f16 v3, v5, v4
	v_perm_b32 v5, v44, v41, 0x5040100
	v_perm_b32 v4, v45, v12, 0x5040100
	v_pk_add_f16 v2, v1, v6
	v_pk_add_f16 v1, v6, v1 neg_lo:[0,1] neg_hi:[0,1]
	ds_store_2addr_b64 v7, v[2:3], v[0:1] offset1:1
	ds_store_b64 v7, v[4:5] offset:16
.LBB0_7:
	s_wait_alu 0xfffe
	s_or_b32 exec_lo, exec_lo, s0
	v_dual_mov_b32 v19, v15 :: v_dual_add_nc_u32 v0, -6, v32
	v_cmp_gt_u16_e64 s0, 6, v32
	global_wb scope:SCOPE_SE
	s_wait_dscnt 0x0
	s_barrier_signal -1
	s_barrier_wait -1
	global_inv scope:SCOPE_SE
	s_wait_alu 0xf1ff
	v_cndmask_b32_e64 v11, v0, v32, s0
	v_or_b32_e32 v18, 48, v32
	s_delay_alu instid0(VALU_DEP_2) | instskip(SKIP_1) | instid1(VALU_DEP_2)
	v_mul_i32_i24_e32 v0, 36, v11
	v_mul_hi_i32_i24_e32 v1, 36, v11
	v_add_co_u32 v13, s0, s2, v0
	s_wait_alu 0xf1ff
	s_delay_alu instid0(VALU_DEP_2)
	v_add_co_ci_u32_e64 v14, s0, s3, v1, s0
	v_cmp_lt_u16_e64 s0, 5, v32
	s_clause 0x2
	global_load_b128 v[4:7], v[13:14], off
	global_load_b128 v[0:3], v[13:14], off offset:16
	global_load_b32 v40, v[13:14], off offset:32
	ds_load_2addr_b32 v[13:14], v24 offset1:12
	ds_load_2addr_b32 v[16:17], v24 offset0:24 offset1:36
	ds_load_2addr_b32 v[47:48], v24 offset0:48 offset1:60
	;; [unrolled: 1-line block ×4, first 2 shown]
	s_wait_alu 0xf1ff
	v_cndmask_b32_e64 v15, 0, 60, s0
	v_add_co_u32 v20, s0, v32, -12
	s_wait_alu 0xf1ff
	v_add_co_ci_u32_e64 v42, null, 0, -1, s0
	v_cmp_gt_u64_e64 s0, 60, v[18:19]
	v_add_nc_u32_e32 v11, v11, v15
	v_lshlrev_b32_e32 v15, 2, v32
	global_wb scope:SCOPE_SE
	s_wait_loadcnt_dscnt 0x0
	s_barrier_signal -1
	s_barrier_wait -1
	s_wait_alu 0xf1ff
	v_cndmask_b32_e64 v19, v42, 0, s0
	v_lshl_add_u32 v42, v11, 2, v39
	v_cndmask_b32_e64 v18, v20, v18, s0
	global_inv scope:SCOPE_SE
	v_lshrrev_b32_e32 v53, 16, v14
	v_lshrrev_b32_e32 v54, 16, v16
	;; [unrolled: 1-line block ×10, first 2 shown]
	v_lshlrev_b64_e32 v[19:20], 2, v[18:19]
	s_delay_alu instid0(VALU_DEP_1) | instskip(SKIP_1) | instid1(VALU_DEP_2)
	v_add_co_u32 v19, s0, s2, v19
	s_wait_alu 0xf1ff
	v_add_co_ci_u32_e64 v20, s0, s3, v20, s0
	s_add_nc_u64 s[0:1], s[8:9], 0x1e0
	v_lshrrev_b32_e32 v66, 16, v4
	v_lshrrev_b32_e32 v64, 16, v5
	;; [unrolled: 1-line block ×9, first 2 shown]
	v_mul_f16_e32 v71, v53, v66
	v_mul_f16_e32 v72, v14, v66
	;; [unrolled: 1-line block ×18, first 2 shown]
	v_fma_f16 v14, v14, v4, -v71
	v_fmac_f16_e32 v72, v53, v4
	v_fma_f16 v16, v16, v5, -v73
	v_fmac_f16_e32 v74, v54, v5
	;; [unrolled: 2-line block ×9, first 2 shown]
	v_add_f16_e32 v53, v13, v16
	v_add_f16_e32 v54, v47, v49
	v_sub_f16_e32 v57, v16, v47
	v_sub_f16_e32 v67, v51, v49
	;; [unrolled: 1-line block ×4, first 2 shown]
	v_add_f16_e32 v71, v11, v74
	v_sub_f16_e32 v77, v74, v78
	v_sub_f16_e32 v79, v86, v82
	v_add_f16_e32 v85, v14, v17
	v_add_f16_e32 v87, v48, v50
	;; [unrolled: 1-line block ×6, first 2 shown]
	v_sub_f16_e32 v55, v74, v86
	v_sub_f16_e32 v56, v78, v82
	v_add_f16_e32 v68, v16, v51
	v_add_f16_e32 v73, v78, v82
	v_sub_f16_e32 v75, v47, v49
	v_add_f16_e32 v81, v74, v86
	v_sub_f16_e32 v74, v78, v74
	v_sub_f16_e32 v89, v76, v88
	v_sub_f16_e32 v91, v17, v48
	v_sub_f16_e32 v94, v48, v17
	v_sub_f16_e32 v17, v17, v52
	v_sub_f16_e32 v98, v48, v50
	v_add_f16_e32 v47, v53, v47
	v_fma_f16 v53, -0.5, v54, v13
	v_add_f16_e32 v54, v57, v67
	v_add_f16_e32 v57, v69, v70
	;; [unrolled: 1-line block ×5, first 2 shown]
	v_fma_f16 v71, -0.5, v87, v14
	v_add_f16_e32 v77, v96, v80
	v_fma_f16 v78, -0.5, v97, v72
	v_sub_f16_e32 v83, v82, v86
	v_sub_f16_e32 v90, v80, v84
	v_fmac_f16_e32 v14, -0.5, v93
	v_fmac_f16_e32 v72, -0.5, v101
	v_sub_f16_e32 v92, v52, v50
	v_sub_f16_e32 v95, v50, v52
	;; [unrolled: 1-line block ×5, first 2 shown]
	v_fmac_f16_e32 v13, -0.5, v68
	v_fma_f16 v68, -0.5, v73, v11
	v_fmac_f16_e32 v11, -0.5, v81
	v_add_f16_e32 v48, v48, v50
	v_fmamk_f16 v50, v89, 0x3b9c, v71
	v_add_f16_e32 v77, v77, v84
	v_fmamk_f16 v84, v17, 0xbb9c, v78
	v_sub_f16_e32 v76, v80, v76
	v_add_f16_e32 v70, v74, v83
	v_fmamk_f16 v83, v90, 0xbb9c, v14
	v_fmac_f16_e32 v14, 0x3b9c, v90
	v_fmamk_f16 v85, v98, 0x3b9c, v72
	v_fmac_f16_e32 v72, 0xbb9c, v98
	v_sub_f16_e32 v16, v16, v51
	v_fmac_f16_e32 v71, 0xbb9c, v89
	v_fmac_f16_e32 v78, 0x3b9c, v17
	v_add_f16_e32 v73, v91, v92
	v_add_f16_e32 v79, v99, v100
	;; [unrolled: 1-line block ×4, first 2 shown]
	v_fmamk_f16 v82, v75, 0x3b9c, v11
	v_fmac_f16_e32 v11, 0xbb9c, v75
	v_fmac_f16_e32 v50, 0x38b4, v90
	;; [unrolled: 1-line block ×3, first 2 shown]
	v_add_f16_e32 v74, v94, v95
	v_add_f16_e32 v76, v76, v102
	v_fmamk_f16 v49, v55, 0x3b9c, v53
	v_fmac_f16_e32 v53, 0xbb9c, v55
	v_fmamk_f16 v80, v56, 0xbb9c, v13
	v_fmac_f16_e32 v13, 0x3b9c, v56
	v_fmac_f16_e32 v83, 0x38b4, v89
	v_fmac_f16_e32 v14, 0xb8b4, v89
	v_fmac_f16_e32 v85, 0xb8b4, v17
	v_fmac_f16_e32 v72, 0x38b4, v17
	v_fmamk_f16 v81, v16, 0xbb9c, v68
	v_fmac_f16_e32 v68, 0x3b9c, v16
	v_fmac_f16_e32 v71, 0xb8b4, v90
	;; [unrolled: 1-line block ×3, first 2 shown]
	v_add_f16_e32 v47, v47, v51
	v_add_f16_e32 v51, v67, v86
	v_fmac_f16_e32 v82, 0xb8b4, v16
	v_fmac_f16_e32 v11, 0x38b4, v16
	v_add_f16_e32 v16, v48, v52
	v_add_f16_e32 v48, v77, v88
	v_fmac_f16_e32 v50, 0x34f2, v73
	v_fmac_f16_e32 v84, 0x34f2, v79
	;; [unrolled: 1-line block ×14, first 2 shown]
	v_add_f16_e32 v17, v47, v16
	v_add_f16_e32 v52, v51, v48
	v_sub_f16_e32 v16, v47, v16
	v_sub_f16_e32 v47, v51, v48
	v_mul_f16_e32 v48, 0x38b4, v84
	v_mul_f16_e32 v56, 0xb8b4, v50
	v_fmac_f16_e32 v49, 0x34f2, v54
	v_fmac_f16_e32 v53, 0x34f2, v54
	;; [unrolled: 1-line block ×4, first 2 shown]
	v_mul_f16_e32 v51, 0x3b9c, v85
	v_mul_f16_e32 v54, 0x34f2, v14
	v_mul_f16_e32 v57, 0xbb9c, v83
	v_mul_f16_e32 v67, 0x34f2, v72
	v_fmac_f16_e32 v81, 0x34f2, v69
	v_fmac_f16_e32 v68, 0x34f2, v69
	v_mul_f16_e32 v55, 0x3a79, v71
	v_mul_f16_e32 v69, 0x3a79, v78
	v_fmac_f16_e32 v48, 0x3a79, v50
	v_fmac_f16_e32 v56, 0x3a79, v84
	;; [unrolled: 1-line block ×4, first 2 shown]
	v_pack_b32_f16 v16, v16, v47
	v_fmac_f16_e32 v51, 0x34f2, v83
	v_fma_f16 v47, v72, 0x3b9c, -v54
	v_fmac_f16_e32 v57, 0x34f2, v85
	v_fma_f16 v14, v14, 0xbb9c, -v67
	v_pack_b32_f16 v17, v17, v52
	v_fma_f16 v50, v78, 0x38b4, -v55
	v_fma_f16 v52, v71, 0xb8b4, -v69
	v_add_f16_e32 v54, v49, v48
	v_add_f16_e32 v70, v81, v56
	;; [unrolled: 1-line block ×8, first 2 shown]
	v_sub_f16_e32 v48, v49, v48
	v_sub_f16_e32 v49, v80, v51
	;; [unrolled: 1-line block ×8, first 2 shown]
	v_pack_b32_f16 v52, v54, v70
	v_pack_b32_f16 v53, v55, v71
	;; [unrolled: 1-line block ×8, first 2 shown]
	ds_store_2addr_b32 v42, v17, v52 offset1:6
	ds_store_2addr_b32 v42, v53, v54 offset0:12 offset1:18
	ds_store_2addr_b32 v42, v55, v16 offset0:24 offset1:30
	ds_store_2addr_b32 v42, v48, v49 offset0:36 offset1:42
	ds_store_2addr_b32 v42, v11, v13 offset0:48 offset1:54
	global_wb scope:SCOPE_SE
	s_wait_dscnt 0x0
	s_barrier_signal -1
	s_barrier_wait -1
	global_inv scope:SCOPE_SE
	s_clause 0x4
	global_load_b32 v52, v15, s[2:3] offset:216
	global_load_b32 v51, v15, s[2:3] offset:264
	;; [unrolled: 1-line block ×4, first 2 shown]
	global_load_b32 v49, v[19:20], off offset:216
	ds_load_2addr_b32 v[16:17], v24 offset1:12
	ds_load_2addr_b32 v[19:20], v24 offset0:48 offset1:60
	ds_load_2addr_b32 v[13:14], v24 offset0:72 offset1:84
	;; [unrolled: 1-line block ×4, first 2 shown]
	v_lshl_add_u32 v47, v18, 2, v39
	s_wait_dscnt 0x4
	v_lshrrev_b32_e32 v18, 16, v16
	s_wait_dscnt 0x3
	v_lshrrev_b32_e32 v11, 16, v20
	s_wait_dscnt 0x2
	v_lshrrev_b32_e32 v72, 16, v13
	v_lshrrev_b32_e32 v74, 16, v14
	s_wait_dscnt 0x0
	v_lshrrev_b32_e32 v76, 16, v69
	v_lshrrev_b32_e32 v78, 16, v70
	;; [unrolled: 1-line block ×6, first 2 shown]
	s_wait_loadcnt 0x4
	v_lshrrev_b32_e32 v57, 16, v52
	s_wait_loadcnt 0x3
	v_lshrrev_b32_e32 v56, 16, v51
	;; [unrolled: 2-line block ×5, first 2 shown]
	v_mul_f16_e32 v79, v11, v57
	v_mul_f16_e32 v80, v20, v57
	v_mul_f16_e32 v81, v72, v56
	v_mul_f16_e32 v82, v13, v56
	v_mul_f16_e32 v83, v74, v55
	v_mul_f16_e32 v84, v14, v55
	v_mul_f16_e32 v85, v76, v54
	v_mul_f16_e32 v86, v69, v54
	v_mul_f16_e32 v87, v78, v53
	v_mul_f16_e32 v88, v70, v53
	v_fma_f16 v20, v20, v52, -v79
	v_fmac_f16_e32 v80, v11, v52
	v_fma_f16 v11, v13, v51, -v81
	v_fmac_f16_e32 v82, v72, v51
	;; [unrolled: 2-line block ×5, first 2 shown]
	v_sub_f16_e32 v20, v16, v20
	v_sub_f16_e32 v74, v18, v80
	;; [unrolled: 1-line block ×10, first 2 shown]
	v_fma_f16 v16, v16, 2.0, -v20
	v_fma_f16 v18, v18, 2.0, -v74
	v_fma_f16 v17, v17, 2.0, -v76
	v_fma_f16 v81, v71, 2.0, -v78
	v_fma_f16 v67, v67, 2.0, -v79
	v_fma_f16 v82, v73, 2.0, -v80
	v_fma_f16 v69, v68, 2.0, -v13
	v_fma_f16 v73, v75, 2.0, -v70
	v_fma_f16 v14, v19, 2.0, -v11
	v_fma_f16 v71, v77, 2.0, -v72
	v_pack_b32_f16 v19, v20, v74
	v_pack_b32_f16 v16, v16, v18
	;; [unrolled: 1-line block ×9, first 2 shown]
	ds_store_b32 v24, v19 offset:240
	v_pack_b32_f16 v19, v14, v71
	ds_store_2addr_b32 v24, v16, v17 offset1:12
	ds_store_b32 v24, v20 offset:288
	ds_store_2addr_b32 v24, v18, v67 offset0:24 offset1:36
	ds_store_2addr_b32 v24, v68, v74 offset0:84 offset1:96
	ds_store_2addr_b32 v47, v19, v75 offset1:60
	global_wb scope:SCOPE_SE
	s_wait_dscnt 0x0
	s_barrier_signal -1
	s_barrier_wait -1
	global_inv scope:SCOPE_SE
	s_clause 0x5
	global_load_b32 v20, v[8:9], off offset:480
	global_load_b32 v74, v15, s[0:1] offset:80
	global_load_b32 v75, v15, s[0:1] offset:160
	;; [unrolled: 1-line block ×5, first 2 shown]
	ds_load_2addr_b32 v[16:17], v24 offset1:20
	ds_load_2addr_b32 v[18:19], v24 offset0:40 offset1:60
	ds_load_2addr_b32 v[67:68], v24 offset0:80 offset1:100
	s_wait_dscnt 0x2
	v_lshrrev_b32_e32 v79, 16, v16
	v_lshrrev_b32_e32 v80, 16, v17
	s_wait_dscnt 0x1
	v_lshrrev_b32_e32 v81, 16, v18
	v_lshrrev_b32_e32 v82, 16, v19
	;; [unrolled: 3-line block ×3, first 2 shown]
	s_wait_loadcnt 0x5
	v_lshrrev_b32_e32 v85, 16, v20
	s_wait_loadcnt 0x4
	v_lshrrev_b32_e32 v86, 16, v74
	;; [unrolled: 2-line block ×6, first 2 shown]
	v_mul_f16_e32 v91, v79, v85
	v_mul_f16_e32 v85, v16, v85
	;; [unrolled: 1-line block ×12, first 2 shown]
	v_fma_f16 v16, v16, v20, -v91
	v_fmac_f16_e32 v85, v79, v20
	v_fma_f16 v17, v17, v74, -v92
	v_fmac_f16_e32 v86, v80, v74
	;; [unrolled: 2-line block ×6, first 2 shown]
	v_pack_b32_f16 v16, v16, v85
	v_pack_b32_f16 v17, v17, v86
	v_pack_b32_f16 v18, v18, v87
	v_pack_b32_f16 v19, v19, v88
	v_pack_b32_f16 v20, v20, v89
	v_pack_b32_f16 v67, v67, v90
	ds_store_2addr_b32 v24, v16, v17 offset1:20
	ds_store_2addr_b32 v24, v18, v19 offset0:40 offset1:60
	ds_store_2addr_b32 v24, v20, v67 offset0:80 offset1:100
	s_and_saveexec_b32 s2, vcc_lo
	s_cbranch_execz .LBB0_9
; %bb.8:
	s_wait_alu 0xfffe
	v_add_co_u32 v15, s0, s0, v15
	s_wait_alu 0xf1ff
	v_add_co_ci_u32_e64 v16, null, s1, 0, s0
	s_clause 0x5
	global_load_b32 v67, v[15:16], off offset:48
	global_load_b32 v68, v[15:16], off offset:128
	;; [unrolled: 1-line block ×6, first 2 shown]
	ds_load_2addr_b32 v[15:16], v24 offset0:12 offset1:32
	ds_load_2addr_b32 v[17:18], v24 offset0:52 offset1:72
	;; [unrolled: 1-line block ×3, first 2 shown]
	s_wait_dscnt 0x2
	v_lshrrev_b32_e32 v78, 16, v15
	v_lshrrev_b32_e32 v79, 16, v16
	s_wait_dscnt 0x1
	v_lshrrev_b32_e32 v80, 16, v17
	v_lshrrev_b32_e32 v81, 16, v18
	;; [unrolled: 3-line block ×3, first 2 shown]
	s_wait_loadcnt 0x5
	v_lshrrev_b32_e32 v84, 16, v67
	s_wait_loadcnt 0x4
	v_lshrrev_b32_e32 v85, 16, v68
	;; [unrolled: 2-line block ×6, first 2 shown]
	v_mul_f16_e32 v90, v78, v84
	v_mul_f16_e32 v84, v15, v84
	;; [unrolled: 1-line block ×12, first 2 shown]
	v_fma_f16 v15, v15, v67, -v90
	v_fmac_f16_e32 v84, v78, v67
	v_fma_f16 v16, v16, v68, -v91
	v_fmac_f16_e32 v85, v79, v68
	;; [unrolled: 2-line block ×6, first 2 shown]
	v_pack_b32_f16 v15, v15, v84
	v_pack_b32_f16 v16, v16, v85
	;; [unrolled: 1-line block ×6, first 2 shown]
	ds_store_2addr_b32 v24, v15, v16 offset0:12 offset1:32
	ds_store_2addr_b32 v24, v17, v18 offset0:52 offset1:72
	;; [unrolled: 1-line block ×3, first 2 shown]
.LBB0_9:
	s_wait_alu 0xfffe
	s_or_b32 exec_lo, exec_lo, s2
	global_wb scope:SCOPE_SE
	s_wait_dscnt 0x0
	s_barrier_signal -1
	s_barrier_wait -1
	global_inv scope:SCOPE_SE
	ds_load_2addr_b32 v[17:18], v24 offset1:20
	ds_load_2addr_b32 v[19:20], v24 offset0:40 offset1:60
	ds_load_2addr_b32 v[15:16], v24 offset0:80 offset1:100
	s_and_saveexec_b32 s0, vcc_lo
	s_cbranch_execz .LBB0_11
; %bb.10:
	v_lshl_add_u32 v41, v32, 2, v39
	ds_load_b32 v69, v24 offset:48
	ds_load_2addr_b32 v[13:14], v41 offset0:32 offset1:52
	ds_load_2addr_b32 v[11:12], v41 offset0:72 offset1:92
	ds_load_b32 v41, v41 offset:448
	s_wait_dscnt 0x3
	v_lshrrev_b32_e32 v73, 16, v69
	s_wait_dscnt 0x2
	v_lshrrev_b32_e32 v70, 16, v13
	v_lshrrev_b32_e32 v71, 16, v14
	s_wait_dscnt 0x1
	v_lshrrev_b32_e32 v72, 16, v11
	;; [unrolled: 3-line block ×3, first 2 shown]
.LBB0_11:
	s_wait_alu 0xfffe
	s_or_b32 exec_lo, exec_lo, s0
	s_wait_dscnt 0x0
	v_pk_add_f16 v74, v20, v16
	v_pk_add_f16 v75, v20, v16 neg_lo:[0,1] neg_hi:[0,1]
	v_pk_add_f16 v76, v19, v15
	v_pk_add_f16 v77, v17, v19
	v_pk_add_f16 v19, v19, v15 neg_lo:[0,1] neg_hi:[0,1]
	v_pk_fma_f16 v74, v74, 0.5, v18 op_sel_hi:[1,0,1] neg_lo:[1,0,0] neg_hi:[1,0,0]
	v_pk_add_f16 v18, v18, v20
	v_pk_fma_f16 v17, v76, 0.5, v17 op_sel_hi:[1,0,1] neg_lo:[1,0,0] neg_hi:[1,0,0]
	v_pk_add_f16 v76, v77, v15
	v_add_nc_u32_e32 v67, 0x60, v24
	v_pk_fma_f16 v20, 0x3aee, v75, v74 op_sel:[0,0,1] op_sel_hi:[0,1,0] neg_lo:[0,1,0] neg_hi:[0,1,0]
	v_pk_fma_f16 v15, 0x3aee, v75, v74 op_sel:[0,0,1] op_sel_hi:[0,1,0]
	v_pk_add_f16 v16, v18, v16
	v_pk_fma_f16 v74, 0x3aee, v19, v17 op_sel:[0,0,1] op_sel_hi:[0,1,0] neg_lo:[0,1,0] neg_hi:[0,1,0]
	v_pk_fma_f16 v17, 0x3aee, v19, v17 op_sel:[0,0,1] op_sel_hi:[0,1,0]
	v_pk_mul_f16 v18, 0x3aee, v20 op_sel_hi:[0,1]
	v_lshrrev_b32_e32 v75, 16, v20
	v_mul_f16_e32 v77, 0x3aee, v15
	v_lshrrev_b32_e32 v78, 16, v15
	v_mul_f16_e32 v20, -0.5, v20
	v_pk_fma_f16 v79, 0xb8003800, v15, v18 op_sel:[0,0,1] op_sel_hi:[1,1,0]
	v_pk_fma_f16 v18, 0xb8003800, v15, v18 op_sel:[0,0,1] op_sel_hi:[1,1,0] neg_lo:[0,0,1] neg_hi:[0,0,1]
	v_lshrrev_b32_e32 v19, 16, v74
	v_fma_f16 v75, v75, 0.5, -v77
	v_fmac_f16_e32 v20, 0x3aee, v78
	v_alignbit_b32 v80, v17, v74, 16
	v_bfi_b32 v77, 0xffff, v79, v18
	v_add_nc_u32_e32 v68, 0x90, v24
	v_add_f16_e32 v19, v19, v75
	v_add_f16_e32 v78, v74, v20
	v_pack_b32_f16 v75, v75, v79
	v_pk_add_f16 v77, v17, v77
	v_alignbit_b32 v74, v74, v17, 16
	v_alignbit_b32 v20, v20, v18, 16
	v_pk_add_f16 v15, v76, v16
	v_pk_add_f16 v18, v76, v16 neg_lo:[0,1] neg_hi:[0,1]
	v_alignbit_b32 v17, v78, v77, 16
	v_pack_b32_f16 v16, v19, v77
	v_pk_add_f16 v19, v80, v75 neg_lo:[0,1] neg_hi:[0,1]
	v_pk_add_f16 v20, v74, v20 neg_lo:[0,1] neg_hi:[0,1]
	global_wb scope:SCOPE_SE
	s_barrier_signal -1
	s_barrier_wait -1
	global_inv scope:SCOPE_SE
	ds_store_2addr_b64 v46, v[15:16], v[17:18] offset1:1
	ds_store_b64 v46, v[19:20] offset:16
	s_and_saveexec_b32 s0, vcc_lo
	s_cbranch_execz .LBB0_13
; %bb.12:
	v_add_f16_e32 v15, v44, v72
	v_add_f16_e32 v18, v41, v11
	v_sub_f16_e32 v19, v11, v41
	v_add_f16_e32 v16, v45, v71
	v_sub_f16_e32 v20, v72, v44
	v_fma_f16 v15, -0.5, v15, v70
	v_add_f16_e32 v46, v71, v73
	v_fma_f16 v18, -0.5, v18, v13
	v_add_f16_e32 v70, v72, v70
	v_add_f16_e32 v74, v12, v14
	v_fmamk_f16 v72, v19, 0xbaee, v15
	v_fmac_f16_e32 v15, 0x3aee, v19
	v_sub_f16_e32 v17, v14, v12
	v_fma_f16 v16, -0.5, v16, v73
	v_fmamk_f16 v73, v20, 0x3aee, v18
	v_mul_f16_e32 v19, -0.5, v72
	v_sub_f16_e32 v71, v71, v45
	v_fmac_f16_e32 v18, 0xbaee, v20
	v_mul_f16_e32 v20, 0.5, v15
	v_add_f16_e32 v45, v45, v46
	v_fma_f16 v46, -0.5, v74, v69
	v_add_f16_e32 v44, v44, v70
	v_mul_f16_e32 v70, 0xbaee, v72
	v_mul_f16_e32 v15, 0xbaee, v15
	v_add_f16_e32 v14, v14, v69
	v_add_f16_e32 v11, v11, v13
	v_fmamk_f16 v75, v17, 0xbaee, v16
	v_fmac_f16_e32 v19, 0x3aee, v73
	v_fmac_f16_e32 v16, 0x3aee, v17
	;; [unrolled: 1-line block ×3, first 2 shown]
	v_fmamk_f16 v72, v71, 0x3aee, v46
	v_fmac_f16_e32 v70, -0.5, v73
	v_fmac_f16_e32 v46, 0xbaee, v71
	v_fmac_f16_e32 v15, 0.5, v18
	v_add_f16_e32 v12, v12, v14
	v_add_f16_e32 v11, v41, v11
	v_sub_f16_e32 v17, v75, v19
	v_sub_f16_e32 v18, v16, v20
	;; [unrolled: 1-line block ×5, first 2 shown]
	v_add_f16_e32 v14, v75, v19
	v_add_f16_e32 v16, v16, v20
	;; [unrolled: 1-line block ×6, first 2 shown]
	v_sub_f16_e32 v41, v72, v70
	v_lshl_add_u32 v39, v43, 2, v39
	v_pack_b32_f16 v11, v19, v14
	v_pack_b32_f16 v14, v15, v16
	;; [unrolled: 1-line block ×6, first 2 shown]
	ds_store_2addr_b64 v39, v[13:14], v[11:12] offset1:1
	ds_store_b64 v39, v[15:16] offset:16
.LBB0_13:
	s_wait_alu 0xfffe
	s_or_b32 exec_lo, exec_lo, s0
	global_wb scope:SCOPE_SE
	s_wait_dscnt 0x0
	s_barrier_signal -1
	s_barrier_wait -1
	global_inv scope:SCOPE_SE
	ds_load_2addr_b32 v[11:12], v24 offset1:12
	ds_load_2addr_b32 v[13:14], v24 offset0:24 offset1:36
	ds_load_2addr_b32 v[15:16], v24 offset0:48 offset1:60
	;; [unrolled: 1-line block ×4, first 2 shown]
	global_wb scope:SCOPE_SE
	s_wait_dscnt 0x0
	s_barrier_signal -1
	s_barrier_wait -1
	global_inv scope:SCOPE_SE
	s_mov_b32 s4, 0x11111111
	s_mov_b32 s5, 0x3f811111
	v_lshrrev_b32_e32 v41, 16, v12
	v_lshrrev_b32_e32 v43, 16, v13
	v_lshrrev_b32_e32 v44, 16, v14
	v_lshrrev_b32_e32 v45, 16, v15
	v_lshrrev_b32_e32 v46, 16, v16
	v_lshrrev_b32_e32 v69, 16, v17
	v_mul_f16_e32 v73, v66, v12
	v_mul_f16_e32 v74, v64, v13
	;; [unrolled: 1-line block ×8, first 2 shown]
	v_lshrrev_b32_e32 v71, 16, v19
	v_fma_f16 v41, v4, v41, -v73
	v_fma_f16 v43, v5, v43, -v74
	v_fmac_f16_e32 v66, v4, v12
	v_fmac_f16_e32 v64, v5, v13
	;; [unrolled: 1-line block ×3, first 2 shown]
	v_fma_f16 v4, v6, v44, -v75
	v_mul_f16_e32 v5, v62, v46
	v_fmac_f16_e32 v63, v7, v15
	v_fma_f16 v6, v7, v45, -v76
	v_mul_f16_e32 v7, v62, v16
	v_mul_f16_e32 v12, v61, v69
	v_lshrrev_b32_e32 v70, 16, v18
	v_fmac_f16_e32 v5, v0, v16
	v_mul_f16_e32 v16, v59, v71
	v_fma_f16 v0, v0, v46, -v7
	v_fmac_f16_e32 v12, v1, v17
	v_mul_f16_e32 v7, v59, v19
	v_lshrrev_b32_e32 v72, 16, v20
	v_mul_f16_e32 v13, v61, v17
	v_mul_f16_e32 v14, v60, v70
	v_add_f16_e32 v15, v63, v12
	v_fma_f16 v7, v3, v71, -v7
	v_fmac_f16_e32 v16, v3, v19
	v_lshrrev_b32_e32 v39, 16, v11
	v_fma_f16 v1, v1, v69, -v13
	v_fmac_f16_e32 v14, v2, v18
	v_mul_f16_e32 v13, v60, v18
	v_mul_f16_e32 v17, v58, v72
	v_add_f16_e32 v18, v11, v64
	v_fma_f16 v15, -0.5, v15, v11
	v_sub_f16_e32 v44, v43, v7
	v_add_f16_e32 v46, v64, v16
	v_fma_f16 v2, v2, v70, -v13
	v_fmac_f16_e32 v17, v40, v20
	v_add_f16_e32 v3, v18, v63
	v_fmamk_f16 v13, v44, 0xbb9c, v15
	v_sub_f16_e32 v18, v6, v1
	v_mul_f16_e32 v20, v58, v20
	v_fmac_f16_e32 v11, -0.5, v46
	v_fmac_f16_e32 v15, 0x3b9c, v44
	v_add_f16_e32 v58, v39, v43
	v_sub_f16_e32 v19, v64, v63
	v_sub_f16_e32 v45, v16, v12
	v_fmac_f16_e32 v13, 0xb8b4, v18
	v_fma_f16 v20, v40, v72, -v20
	v_fmamk_f16 v40, v18, 0x3b9c, v11
	v_fmac_f16_e32 v15, 0x38b4, v18
	v_fmac_f16_e32 v11, 0xbb9c, v18
	v_add_f16_e32 v18, v58, v6
	v_add_f16_e32 v3, v3, v12
	;; [unrolled: 1-line block ×3, first 2 shown]
	v_sub_f16_e32 v45, v63, v64
	v_sub_f16_e32 v46, v12, v16
	v_add_f16_e32 v59, v6, v1
	v_fmac_f16_e32 v40, 0xb8b4, v44
	v_fmac_f16_e32 v11, 0x38b4, v44
	v_add_f16_e32 v18, v18, v1
	v_add_f16_e32 v44, v43, v7
	;; [unrolled: 1-line block ×4, first 2 shown]
	v_fma_f16 v46, -0.5, v59, v39
	v_sub_f16_e32 v16, v64, v16
	v_sub_f16_e32 v12, v63, v12
	;; [unrolled: 1-line block ×4, first 2 shown]
	v_fmac_f16_e32 v39, -0.5, v44
	v_add_f16_e32 v18, v18, v7
	v_sub_f16_e32 v6, v6, v43
	v_sub_f16_e32 v1, v1, v7
	v_add_f16_e32 v7, v66, v65
	v_fmac_f16_e32 v13, 0x34f2, v19
	v_fmac_f16_e32 v15, 0x34f2, v19
	;; [unrolled: 1-line block ×3, first 2 shown]
	v_fmamk_f16 v19, v16, 0x3b9c, v46
	v_fmac_f16_e32 v11, 0x34f2, v45
	v_fmac_f16_e32 v46, 0xbb9c, v16
	v_fmamk_f16 v45, v12, 0xbb9c, v39
	v_add_f16_e32 v1, v6, v1
	v_fmac_f16_e32 v39, 0x3b9c, v12
	v_add_f16_e32 v6, v7, v5
	v_add_f16_e32 v7, v5, v14
	v_fmac_f16_e32 v19, 0x38b4, v12
	v_fmac_f16_e32 v46, 0xb8b4, v12
	;; [unrolled: 1-line block ×4, first 2 shown]
	v_add_f16_e32 v6, v6, v14
	v_add_f16_e32 v12, v65, v17
	v_fma_f16 v7, -0.5, v7, v66
	v_sub_f16_e32 v16, v4, v20
	v_add_f16_e32 v44, v58, v59
	v_fmac_f16_e32 v45, 0x34f2, v1
	v_fmac_f16_e32 v39, 0x34f2, v1
	v_add_f16_e32 v1, v6, v17
	v_sub_f16_e32 v6, v0, v2
	v_fmac_f16_e32 v66, -0.5, v12
	v_fmamk_f16 v12, v16, 0xbb9c, v7
	v_fmac_f16_e32 v7, 0x3b9c, v16
	v_fmac_f16_e32 v19, 0x34f2, v44
	;; [unrolled: 1-line block ×3, first 2 shown]
	v_sub_f16_e32 v43, v65, v5
	v_sub_f16_e32 v44, v17, v14
	v_fmamk_f16 v58, v6, 0x3b9c, v66
	v_fmac_f16_e32 v66, 0xbb9c, v6
	v_sub_f16_e32 v59, v5, v65
	v_sub_f16_e32 v60, v14, v17
	v_fmac_f16_e32 v12, 0xb8b4, v6
	v_fmac_f16_e32 v7, 0x38b4, v6
	v_add_f16_e32 v6, v0, v2
	v_add_f16_e32 v43, v43, v44
	v_fmac_f16_e32 v58, 0xb8b4, v16
	v_fmac_f16_e32 v66, 0x38b4, v16
	v_add_f16_e32 v16, v4, v20
	v_add_f16_e32 v44, v59, v60
	v_fma_f16 v6, -0.5, v6, v41
	v_sub_f16_e32 v17, v65, v17
	v_fmac_f16_e32 v12, 0x34f2, v43
	v_fmac_f16_e32 v7, 0x34f2, v43
	v_add_f16_e32 v43, v41, v4
	v_sub_f16_e32 v5, v5, v14
	v_fmac_f16_e32 v41, -0.5, v16
	v_fmac_f16_e32 v58, 0x34f2, v44
	v_fmac_f16_e32 v66, 0x34f2, v44
	v_fmamk_f16 v14, v17, 0x3b9c, v6
	v_sub_f16_e32 v16, v4, v0
	v_sub_f16_e32 v44, v20, v2
	v_fmamk_f16 v59, v5, 0xbb9c, v41
	v_sub_f16_e32 v4, v0, v4
	v_sub_f16_e32 v60, v2, v20
	v_fmac_f16_e32 v41, 0x3b9c, v5
	v_fmac_f16_e32 v6, 0xbb9c, v17
	v_fmac_f16_e32 v14, 0x38b4, v5
	v_add_f16_e32 v16, v16, v44
	v_fmac_f16_e32 v59, 0x38b4, v17
	v_add_f16_e32 v4, v4, v60
	v_fmac_f16_e32 v41, 0xb8b4, v17
	v_fmac_f16_e32 v6, 0xb8b4, v5
	v_add_f16_e32 v0, v43, v0
	v_fmac_f16_e32 v14, 0x34f2, v16
	v_fmac_f16_e32 v59, 0x34f2, v4
	;; [unrolled: 1-line block ×4, first 2 shown]
	v_add_f16_e32 v0, v0, v2
	v_mul_f16_e32 v2, 0xb8b4, v14
	v_mul_f16_e32 v14, 0x3a79, v14
	;; [unrolled: 1-line block ×8, first 2 shown]
	v_add_f16_e32 v0, v0, v20
	v_fmac_f16_e32 v2, 0x3a79, v12
	v_fmac_f16_e32 v14, 0x38b4, v12
	;; [unrolled: 1-line block ×8, first 2 shown]
	v_add_f16_e32 v17, v3, v1
	v_add_f16_e32 v20, v13, v2
	;; [unrolled: 1-line block ×10, first 2 shown]
	v_sub_f16_e32 v1, v3, v1
	v_sub_f16_e32 v0, v18, v0
	;; [unrolled: 1-line block ×10, first 2 shown]
	v_pack_b32_f16 v7, v17, v7
	v_pack_b32_f16 v12, v20, v12
	;; [unrolled: 1-line block ×10, first 2 shown]
	ds_store_2addr_b32 v42, v7, v12 offset1:6
	ds_store_2addr_b32 v42, v15, v16 offset0:12 offset1:18
	ds_store_2addr_b32 v42, v17, v0 offset0:24 offset1:30
	;; [unrolled: 1-line block ×4, first 2 shown]
	global_wb scope:SCOPE_SE
	s_wait_dscnt 0x0
	s_barrier_signal -1
	s_barrier_wait -1
	global_inv scope:SCOPE_SE
	ds_load_2addr_b32 v[0:1], v24 offset1:12
	ds_load_2addr_b32 v[2:3], v24 offset0:48 offset1:60
	ds_load_2addr_b32 v[4:5], v24 offset0:72 offset1:84
	ds_load_2addr_b32 v[6:7], v24 offset0:24 offset1:36
	ds_load_2addr_b32 v[11:12], v24 offset0:96 offset1:108
	s_wait_dscnt 0x4
	v_lshrrev_b32_e32 v13, 16, v0
	s_wait_dscnt 0x3
	v_lshrrev_b32_e32 v14, 16, v3
	;; [unrolled: 2-line block ×3, first 2 shown]
	v_mul_f16_e32 v40, v57, v3
	v_lshrrev_b32_e32 v18, 16, v5
	s_wait_dscnt 0x0
	v_lshrrev_b32_e32 v39, 16, v11
	v_mul_f16_e32 v20, v57, v14
	v_mul_f16_e32 v44, v55, v5
	v_fma_f16 v14, v52, v14, -v40
	v_mul_f16_e32 v40, v56, v4
	v_mul_f16_e32 v43, v55, v18
	v_fmac_f16_e32 v20, v52, v3
	v_mul_f16_e32 v3, v56, v16
	v_lshrrev_b32_e32 v42, 16, v12
	v_lshrrev_b32_e32 v15, 16, v1
	v_fma_f16 v16, v51, v16, -v40
	v_fmac_f16_e32 v43, v50, v5
	v_fmac_f16_e32 v3, v51, v4
	v_mul_f16_e32 v4, v54, v39
	v_fma_f16 v5, v50, v18, -v44
	v_mul_f16_e32 v18, v54, v11
	v_mul_f16_e32 v40, v53, v12
	v_sub_f16_e32 v20, v0, v20
	v_fmac_f16_e32 v4, v48, v11
	v_mul_f16_e32 v11, v53, v42
	v_sub_f16_e32 v14, v13, v14
	v_sub_f16_e32 v3, v1, v3
	;; [unrolled: 1-line block ×3, first 2 shown]
	v_lshrrev_b32_e32 v17, 16, v6
	v_lshrrev_b32_e32 v19, 16, v7
	v_fma_f16 v18, v48, v39, -v18
	v_lshrrev_b32_e32 v41, 16, v2
	v_fmac_f16_e32 v11, v49, v12
	v_fma_f16 v12, v49, v42, -v40
	v_fma_f16 v0, v0, 2.0, -v20
	v_fma_f16 v13, v13, 2.0, -v14
	;; [unrolled: 1-line block ×4, first 2 shown]
	v_sub_f16_e32 v39, v6, v43
	v_sub_f16_e32 v5, v17, v5
	;; [unrolled: 1-line block ×6, first 2 shown]
	v_pack_b32_f16 v0, v0, v13
	v_pack_b32_f16 v1, v1, v15
	v_fma_f16 v6, v6, 2.0, -v39
	v_fma_f16 v17, v17, 2.0, -v5
	;; [unrolled: 1-line block ×6, first 2 shown]
	v_pack_b32_f16 v14, v20, v14
	ds_store_2addr_b32 v24, v0, v1 offset1:12
	v_pack_b32_f16 v0, v3, v16
	v_pack_b32_f16 v1, v6, v17
	;; [unrolled: 1-line block ×7, first 2 shown]
	ds_store_2addr_b32 v24, v14, v0 offset0:60 offset1:72
	ds_store_2addr_b32 v24, v1, v5 offset0:24 offset1:36
	ds_store_b32 v67, v3 offset:240
	ds_store_b32 v68, v4 offset:240
	ds_store_2addr_b32 v47, v2, v6 offset1:60
	global_wb scope:SCOPE_SE
	s_wait_dscnt 0x0
	s_barrier_signal -1
	s_barrier_wait -1
	global_inv scope:SCOPE_SE
	ds_load_2addr_b32 v[0:1], v24 offset1:20
	s_wait_dscnt 0x0
	v_lshrrev_b32_e32 v4, 16, v0
	s_delay_alu instid0(VALU_DEP_1) | instskip(NEXT) | instid1(VALU_DEP_1)
	v_mul_f16_e32 v2, v38, v4
	v_fmac_f16_e32 v2, v37, v0
	v_mul_f16_e32 v0, v38, v0
	s_delay_alu instid0(VALU_DEP_2) | instskip(NEXT) | instid1(VALU_DEP_2)
	v_cvt_f32_f16_e32 v2, v2
	v_fma_f16 v0, v37, v4, -v0
	s_delay_alu instid0(VALU_DEP_2) | instskip(NEXT) | instid1(VALU_DEP_2)
	v_cvt_f64_f32_e32 v[2:3], v2
	v_cvt_f32_f16_e32 v0, v0
	s_delay_alu instid0(VALU_DEP_1) | instskip(SKIP_1) | instid1(VALU_DEP_3)
	v_cvt_f64_f32_e32 v[4:5], v0
	s_wait_alu 0xfffe
	v_mul_f64_e32 v[2:3], s[4:5], v[2:3]
	s_delay_alu instid0(VALU_DEP_2) | instskip(NEXT) | instid1(VALU_DEP_2)
	v_mul_f64_e32 v[4:5], s[4:5], v[4:5]
	v_and_or_b32 v0, 0x1ff, v3, v2
	v_lshrrev_b32_e32 v2, 16, v1
	v_lshrrev_b32_e32 v6, 8, v3
	v_bfe_u32 v11, v3, 20, 11
	v_lshrrev_b32_e32 v3, 16, v3
	v_cmp_ne_u32_e64 s0, 0, v0
	v_mul_f16_e32 v7, v36, v2
	v_and_or_b32 v4, 0x1ff, v5, v4
	v_lshrrev_b32_e32 v14, 8, v5
	v_bfe_u32 v16, v5, 20, 11
	s_wait_alu 0xf1ff
	v_cndmask_b32_e64 v0, 0, 1, s0
	v_fmac_f16_e32 v7, v35, v1
	v_cmp_ne_u32_e64 s0, 0, v4
	v_add_nc_u32_e32 v17, 0xfffffc10, v11
	v_mul_f16_e32 v1, v36, v1
	v_and_or_b32 v15, 0xffe, v6, v0
	v_sub_nc_u32_e32 v0, 0x3f1, v11
	v_cvt_f32_f16_e32 v6, v7
	s_wait_alu 0xf1ff
	v_cndmask_b32_e64 v4, 0, 1, s0
	v_sub_nc_u32_e32 v11, 0x3f1, v16
	v_or_b32_e32 v12, 0x1000, v15
	v_med3_i32 v0, v0, 0, 13
	v_cvt_f64_f32_e32 v[6:7], v6
	v_and_or_b32 v4, 0xffe, v14, v4
	v_med3_i32 v11, v11, 0, 13
	v_lshrrev_b32_e32 v5, 16, v5
	v_lshrrev_b32_e32 v13, v0, v12
	s_delay_alu instid0(VALU_DEP_1) | instskip(NEXT) | instid1(VALU_DEP_1)
	v_lshlrev_b32_e32 v0, v0, v13
	v_cmp_ne_u32_e64 s0, v0, v12
	v_lshl_or_b32 v12, v17, 12, v15
	s_wait_alu 0xf1ff
	s_delay_alu instid0(VALU_DEP_2) | instskip(SKIP_1) | instid1(VALU_DEP_2)
	v_cndmask_b32_e64 v0, 0, 1, s0
	v_cmp_gt_i32_e64 s0, 1, v17
	v_or_b32_e32 v0, v13, v0
	v_or_b32_e32 v13, 0x1000, v4
	s_wait_alu 0xf1ff
	s_delay_alu instid0(VALU_DEP_2) | instskip(NEXT) | instid1(VALU_DEP_2)
	v_cndmask_b32_e64 v14, v12, v0, s0
	v_lshrrev_b32_e32 v18, v11, v13
	v_fma_f16 v0, v35, v2, -v1
	s_delay_alu instid0(VALU_DEP_3) | instskip(NEXT) | instid1(VALU_DEP_3)
	v_and_b32_e32 v2, 7, v14
	v_lshlrev_b32_e32 v19, v11, v18
	s_delay_alu instid0(VALU_DEP_3) | instskip(SKIP_1) | instid1(VALU_DEP_4)
	v_cvt_f32_f16_e32 v11, v0
	v_mad_co_u64_u32 v[0:1], null, s26, v10, 0
	v_cmp_lt_i32_e64 s0, 5, v2
	v_cmp_eq_u32_e64 s1, 3, v2
	s_delay_alu instid0(VALU_DEP_4)
	v_cvt_f64_f32_e32 v[11:12], v11
	v_cmp_ne_u32_e64 s2, v19, v13
	v_add_nc_u32_e32 v19, 0xfffffc10, v16
	v_lshrrev_b32_e32 v16, 2, v14
	v_mul_f64_e32 v[6:7], s[4:5], v[6:7]
	s_or_b32 s0, s1, s0
	ds_load_2addr_b32 v[13:14], v24 offset0:40 offset1:60
	v_cndmask_b32_e64 v2, 0, 1, s2
	s_wait_alu 0xfffe
	v_add_co_ci_u32_e64 v16, s0, 0, v16, s0
	v_cmp_ne_u32_e64 s0, 0, v15
	s_delay_alu instid0(VALU_DEP_3) | instskip(SKIP_2) | instid1(VALU_DEP_3)
	v_or_b32_e32 v2, v18, v2
	v_lshl_or_b32 v18, v19, 12, v4
	s_wait_alu 0xf1ff
	v_cndmask_b32_e64 v15, 0, 1, s0
	v_cmp_gt_i32_e64 s0, 1, v19
	s_delay_alu instid0(VALU_DEP_2) | instskip(SKIP_1) | instid1(VALU_DEP_2)
	v_lshl_or_b32 v15, v15, 9, 0x7c00
	s_wait_alu 0xf1ff
	v_cndmask_b32_e64 v18, v18, v2, s0
	v_cmp_gt_i32_e64 s0, 31, v17
	s_wait_dscnt 0x0
	v_lshrrev_b32_e32 v20, 16, v13
	s_wait_alu 0xf1ff
	s_delay_alu instid0(VALU_DEP_2) | instskip(SKIP_2) | instid1(VALU_DEP_2)
	v_cndmask_b32_e64 v2, 0x7c00, v16, s0
	v_and_b32_e32 v16, 7, v18
	v_cmp_eq_u32_e64 s0, 0x40f, v17
	v_cmp_eq_u32_e64 s1, 3, v16
	s_wait_alu 0xf1ff
	s_delay_alu instid0(VALU_DEP_2) | instskip(SKIP_4) | instid1(VALU_DEP_4)
	v_cndmask_b32_e64 v15, v2, v15, s0
	v_cmp_lt_i32_e64 s0, 5, v16
	v_mad_co_u64_u32 v[1:2], null, s27, v10, v[1:2]
	v_lshrrev_b32_e32 v2, 2, v18
	v_mul_f16_e32 v16, v34, v20
	s_or_b32 s0, s1, s0
	v_mul_f64_e32 v[10:11], s[4:5], v[11:12]
	v_and_or_b32 v35, 0x8000, v3, v15
	s_wait_alu 0xfffe
	v_add_co_ci_u32_e64 v2, s0, 0, v2, s0
	v_fmac_f16_e32 v16, v33, v13
	v_cmp_ne_u32_e64 s0, 0, v4
	v_and_or_b32 v6, 0x1ff, v7, v6
	v_bfe_u32 v12, v7, 20, 11
	v_lshlrev_b64_e32 v[0:1], 2, v[0:1]
	v_cvt_f32_f16_e32 v4, v16
	s_wait_alu 0xf1ff
	v_cndmask_b32_e64 v3, 0, 1, s0
	v_cmp_gt_i32_e64 s0, 31, v19
	v_mad_co_u64_u32 v[15:16], null, s24, v32, 0
	v_cvt_f64_f32_e32 v[17:18], v4
	s_delay_alu instid0(VALU_DEP_4)
	v_lshl_or_b32 v3, v3, 9, 0x7c00
	s_wait_alu 0xf1ff
	v_cndmask_b32_e64 v2, 0x7c00, v2, s0
	v_cmp_ne_u32_e64 s0, 0, v6
	v_lshrrev_b32_e32 v6, 8, v7
	v_lshrrev_b32_e32 v7, 16, v7
	s_wait_alu 0xf1ff
	s_delay_alu instid0(VALU_DEP_3) | instskip(SKIP_1) | instid1(VALU_DEP_2)
	v_cndmask_b32_e64 v4, 0, 1, s0
	v_cmp_eq_u32_e64 s0, 0x40f, v19
	v_and_or_b32 v6, 0xffe, v6, v4
	s_wait_alu 0xf1ff
	s_delay_alu instid0(VALU_DEP_2) | instskip(SKIP_2) | instid1(VALU_DEP_2)
	v_cndmask_b32_e64 v19, v2, v3, s0
	v_mov_b32_e32 v2, v16
	v_sub_nc_u32_e32 v4, 0x3f1, v12
	v_mad_co_u64_u32 v[2:3], null, s25, v32, v[2:3]
	v_or_b32_e32 v32, 0x1000, v6
	s_delay_alu instid0(VALU_DEP_3) | instskip(SKIP_2) | instid1(VALU_DEP_3)
	v_med3_i32 v3, v4, 0, 13
	v_and_or_b32 v4, 0x8000, v5, v19
	v_and_b32_e32 v5, 0xffff, v35
	v_lshrrev_b32_e32 v19, v3, v32
	v_mov_b32_e32 v16, v2
	s_delay_alu instid0(VALU_DEP_3)
	v_lshl_or_b32 v35, v4, 16, v5
	v_mul_f16_e32 v5, v34, v13
	v_add_co_u32 v2, s0, s6, v0
	v_lshlrev_b32_e32 v4, v3, v19
	s_wait_alu 0xf1ff
	v_add_co_ci_u32_e64 v3, s0, s7, v1, s0
	v_and_or_b32 v0, 0x1ff, v11, v10
	v_fma_f16 v1, v33, v20, -v5
	v_cmp_ne_u32_e64 s0, v4, v32
	v_add_nc_u32_e32 v10, 0xfffffc10, v12
	v_lshrrev_b32_e32 v13, 8, v11
	v_lshrrev_b32_e32 v33, 16, v14
	v_cvt_f32_f16_e32 v5, v1
	s_wait_alu 0xf1ff
	v_cndmask_b32_e64 v4, 0, 1, s0
	v_cmp_ne_u32_e64 s0, 0, v0
	v_mul_f64_e32 v[0:1], s[4:5], v[17:18]
	v_bfe_u32 v17, v11, 20, 11
	s_mul_u64 s[6:7], s[24:25], 0x50
	v_or_b32_e32 v18, v19, v4
	v_cndmask_b32_e64 v12, 0, 1, s0
	v_cvt_f64_f32_e32 v[4:5], v5
	v_lshl_or_b32 v19, v10, 12, v6
	v_sub_nc_u32_e32 v32, 0x3f1, v17
	v_cmp_gt_i32_e64 s0, 1, v10
	v_and_or_b32 v20, 0xffe, v13, v12
	v_lshlrev_b64_e32 v[12:13], 2, v[15:16]
	v_add_nc_u32_e32 v17, 0xfffffc10, v17
	s_wait_alu 0xf1ff
	v_cndmask_b32_e64 v15, v19, v18, s0
	v_or_b32_e32 v16, 0x1000, v20
	v_med3_i32 v18, v32, 0, 13
	v_add_co_u32 v12, s0, v2, v12
	s_delay_alu instid0(VALU_DEP_4)
	v_and_b32_e32 v32, 7, v15
	s_wait_alu 0xf1ff
	v_add_co_ci_u32_e64 v13, s0, v3, v13, s0
	v_lshrrev_b32_e32 v19, v18, v16
	v_lshrrev_b32_e32 v15, 2, v15
	v_cmp_lt_i32_e64 s0, 5, v32
	v_cmp_eq_u32_e64 s1, 3, v32
	v_mul_f16_e32 v32, v31, v33
	v_lshlrev_b32_e32 v18, v18, v19
	global_store_b32 v[12:13], v35, off
	s_or_b32 s0, s1, s0
	v_fmac_f16_e32 v32, v30, v14
	v_cmp_ne_u32_e64 s2, v18, v16
	s_wait_alu 0xfffe
	v_add_co_ci_u32_e64 v18, s0, 0, v15, s0
	v_cmp_ne_u32_e64 s0, 0, v6
	v_cvt_f32_f16_e32 v15, v32
	s_wait_alu 0xf1ff
	v_cndmask_b32_e64 v16, 0, 1, s2
	v_lshl_or_b32 v32, v17, 12, v20
	v_and_or_b32 v0, 0x1ff, v1, v0
	v_cndmask_b32_e64 v6, 0, 1, s0
	v_cmp_gt_i32_e64 s0, 1, v17
	v_or_b32_e32 v19, v19, v16
	v_cvt_f64_f32_e32 v[15:16], v15
	v_mul_f64_e32 v[4:5], s[4:5], v[4:5]
	v_bfe_u32 v34, v1, 20, 11
	v_cmp_eq_u32_e64 s2, 0x40f, v10
	s_wait_alu 0xf1ff
	v_cndmask_b32_e64 v19, v32, v19, s0
	v_cmp_ne_u32_e64 s0, 0, v0
	v_lshrrev_b32_e32 v32, 8, v1
	v_lshl_or_b32 v6, v6, 9, 0x7c00
	v_lshrrev_b32_e32 v1, 16, v1
	v_and_b32_e32 v35, 7, v19
	s_wait_alu 0xf1ff
	v_cndmask_b32_e64 v0, 0, 1, s0
	v_cmp_gt_i32_e64 s0, 31, v10
	v_lshrrev_b32_e32 v10, 2, v19
	v_cmp_eq_u32_e64 s1, 3, v35
	s_delay_alu instid0(VALU_DEP_4)
	v_and_or_b32 v0, 0xffe, v32, v0
	v_sub_nc_u32_e32 v32, 0x3f1, v34
	s_wait_alu 0xf1ff
	v_cndmask_b32_e64 v18, 0x7c00, v18, s0
	v_cmp_lt_i32_e64 s0, 5, v35
	v_or_b32_e32 v35, 0x1000, v0
	v_med3_i32 v32, v32, 0, 13
	s_delay_alu instid0(VALU_DEP_4) | instskip(NEXT) | instid1(VALU_DEP_4)
	v_cndmask_b32_e64 v6, v18, v6, s2
	s_or_b32 s0, s1, s0
	s_wait_alu 0xfffe
	v_add_co_ci_u32_e64 v10, s0, 0, v10, s0
	v_lshrrev_b32_e32 v18, v32, v35
	v_cmp_gt_i32_e64 s0, 31, v17
	v_and_or_b32 v19, 0x8000, v7, v6
	v_mul_f16_e32 v7, v31, v14
	s_delay_alu instid0(VALU_DEP_4)
	v_lshlrev_b32_e32 v6, v32, v18
	s_wait_alu 0xf1ff
	v_cndmask_b32_e64 v10, 0x7c00, v10, s0
	v_cmp_ne_u32_e64 s0, 0, v20
	v_fma_f16 v7, v30, v33, -v7
	v_add_nc_u32_e32 v30, 0xfffffc10, v34
	v_and_b32_e32 v19, 0xffff, v19
	s_wait_alu 0xf1ff
	v_cndmask_b32_e64 v14, 0, 1, s0
	v_cmp_ne_u32_e64 s0, v6, v35
	v_and_or_b32 v4, 0x1ff, v5, v4
	s_delay_alu instid0(VALU_DEP_3) | instskip(SKIP_1) | instid1(VALU_DEP_3)
	v_lshl_or_b32 v31, v14, 9, 0x7c00
	s_wait_alu 0xf1ff
	v_cndmask_b32_e64 v20, 0, 1, s0
	v_cmp_eq_u32_e64 s0, 0x40f, v17
	v_cvt_f32_f16_e32 v14, v7
	v_mul_f64_e32 v[6:7], s[4:5], v[15:16]
	s_delay_alu instid0(VALU_DEP_4)
	v_or_b32_e32 v16, v18, v20
	v_lshl_or_b32 v18, v30, 12, v0
	s_wait_alu 0xf1ff
	v_cndmask_b32_e64 v17, v10, v31, s0
	v_cmp_gt_i32_e64 s0, 1, v30
	v_cvt_f64_f32_e32 v[14:15], v14
	v_bfe_u32 v20, v5, 20, 11
	v_lshrrev_b32_e32 v31, 16, v11
	ds_load_2addr_b32 v[10:11], v24 offset0:80 offset1:100
	s_wait_alu 0xf1ff
	v_cndmask_b32_e64 v16, v18, v16, s0
	v_cmp_ne_u32_e64 s0, 0, v4
	v_lshrrev_b32_e32 v18, 8, v5
	v_and_or_b32 v17, 0x8000, v31, v17
	v_lshrrev_b32_e32 v5, 16, v5
	v_and_b32_e32 v32, 7, v16
	s_wait_alu 0xf1ff
	v_cndmask_b32_e64 v4, 0, 1, s0
	v_lshrrev_b32_e32 v16, 2, v16
	v_lshl_or_b32 v19, v17, 16, v19
	v_cmp_lt_i32_e64 s0, 5, v32
	s_delay_alu instid0(VALU_DEP_4) | instskip(SKIP_3) | instid1(VALU_DEP_4)
	v_and_or_b32 v4, 0xffe, v18, v4
	v_sub_nc_u32_e32 v18, 0x3f1, v20
	v_cmp_eq_u32_e64 s1, 3, v32
	v_add_nc_u32_e32 v20, 0xfffffc10, v20
	v_or_b32_e32 v31, 0x1000, v4
	s_delay_alu instid0(VALU_DEP_4) | instskip(NEXT) | instid1(VALU_DEP_4)
	v_med3_i32 v18, v18, 0, 13
	s_or_b32 s0, s1, s0
	s_wait_dscnt 0x0
	v_lshrrev_b32_e32 v32, 16, v10
	s_wait_alu 0xfffe
	v_add_co_ci_u32_e64 v16, s0, 0, v16, s0
	v_lshrrev_b32_e32 v17, v18, v31
	v_cmp_ne_u32_e64 s0, 0, v0
	v_lshl_or_b32 v35, v20, 12, v4
	s_delay_alu instid0(VALU_DEP_3) | instskip(SKIP_1) | instid1(VALU_DEP_3)
	v_lshlrev_b32_e32 v18, v18, v17
	s_wait_alu 0xf1ff
	v_cndmask_b32_e64 v0, 0, 1, s0
	v_cmp_gt_i32_e64 s0, 31, v30
	v_and_or_b32 v6, 0x1ff, v7, v6
	v_bfe_u32 v34, v7, 20, 11
	s_delay_alu instid0(VALU_DEP_4)
	v_lshl_or_b32 v0, v0, 9, 0x7c00
	s_wait_alu 0xf1ff
	v_cndmask_b32_e64 v33, 0x7c00, v16, s0
	v_mul_f16_e32 v16, v29, v32
	v_cmp_ne_u32_e64 s0, v18, v31
	v_mul_f64_e32 v[14:15], s[4:5], v[14:15]
	v_lshrrev_b32_e32 v31, 8, v7
	s_delay_alu instid0(VALU_DEP_4) | instskip(SKIP_3) | instid1(VALU_DEP_3)
	v_fmac_f16_e32 v16, v28, v10
	s_wait_alu 0xf1ff
	v_cndmask_b32_e64 v18, 0, 1, s0
	v_cmp_ne_u32_e64 s0, 0, v6
	v_cvt_f32_f16_e32 v16, v16
	s_delay_alu instid0(VALU_DEP_3) | instskip(SKIP_1) | instid1(VALU_DEP_3)
	v_or_b32_e32 v18, v17, v18
	s_wait_alu 0xf1ff
	v_cndmask_b32_e64 v6, 0, 1, s0
	v_cmp_gt_i32_e64 s0, 1, v20
	v_cvt_f64_f32_e32 v[16:17], v16
	s_delay_alu instid0(VALU_DEP_3)
	v_and_or_b32 v6, 0xffe, v31, v6
	v_sub_nc_u32_e32 v31, 0x3f1, v34
	s_wait_alu 0xf1ff
	v_cndmask_b32_e64 v18, v35, v18, s0
	v_cmp_eq_u32_e64 s0, 0x40f, v30
	v_or_b32_e32 v35, 0x1000, v6
	v_med3_i32 v31, v31, 0, 13
	s_delay_alu instid0(VALU_DEP_4)
	v_and_b32_e32 v30, 7, v18
	s_wait_alu 0xf1ff
	v_cndmask_b32_e64 v0, v33, v0, s0
	v_add_co_u32 v12, s0, v12, s6
	v_lshrrev_b32_e32 v33, v31, v35
	s_wait_alu 0xf1ff
	v_add_co_ci_u32_e64 v13, s0, s7, v13, s0
	v_and_or_b32 v36, 0x8000, v1, v0
	v_cmp_lt_i32_e64 s0, 5, v30
	v_lshlrev_b32_e32 v0, v31, v33
	v_cmp_eq_u32_e64 s1, 3, v30
	v_mul_f16_e32 v1, v29, v10
	v_lshrrev_b32_e32 v10, 2, v18
	v_add_nc_u32_e32 v18, 0xfffffc10, v34
	v_cmp_ne_u32_e64 s2, v0, v35
	s_or_b32 s0, s1, s0
	v_fma_f16 v1, v28, v32, -v1
	s_wait_alu 0xfffe
	v_add_co_ci_u32_e64 v10, s0, 0, v10, s0
	v_cndmask_b32_e64 v0, 0, 1, s2
	v_cmp_ne_u32_e64 s0, 0, v4
	v_lshl_or_b32 v28, v18, 12, v6
	v_and_or_b32 v14, 0x1ff, v15, v14
	v_cvt_f32_f16_e32 v1, v1
	v_or_b32_e32 v0, v33, v0
	s_wait_alu 0xf1ff
	v_cndmask_b32_e64 v4, 0, 1, s0
	v_cmp_gt_i32_e64 s0, 1, v18
	v_lshrrev_b32_e32 v29, 8, v15
	v_bfe_u32 v30, v15, 20, 11
	v_mul_f64_e32 v[16:17], s[4:5], v[16:17]
	v_lshl_or_b32 v4, v4, 9, 0x7c00
	s_wait_alu 0xf1ff
	v_cndmask_b32_e64 v28, v28, v0, s0
	v_cmp_ne_u32_e64 s0, 0, v14
	v_cvt_f64_f32_e32 v[0:1], v1
	v_lshrrev_b32_e32 v15, 16, v15
	s_delay_alu instid0(VALU_DEP_4) | instskip(SKIP_3) | instid1(VALU_DEP_3)
	v_and_b32_e32 v31, 7, v28
	s_wait_alu 0xf1ff
	v_cndmask_b32_e64 v14, 0, 1, s0
	v_cmp_gt_i32_e64 s0, 31, v20
	v_cmp_eq_u32_e64 s1, 3, v31
	s_delay_alu instid0(VALU_DEP_3) | instskip(SKIP_1) | instid1(VALU_DEP_3)
	v_and_or_b32 v14, 0xffe, v29, v14
	s_wait_alu 0xf1ff
	v_cndmask_b32_e64 v10, 0x7c00, v10, s0
	v_cmp_eq_u32_e64 s0, 0x40f, v20
	v_sub_nc_u32_e32 v29, 0x3f1, v30
	s_wait_alu 0xf1ff
	s_delay_alu instid0(VALU_DEP_2) | instskip(SKIP_1) | instid1(VALU_DEP_3)
	v_cndmask_b32_e64 v4, v10, v4, s0
	v_or_b32_e32 v10, 0x1000, v14
	v_med3_i32 v20, v29, 0, 13
	v_cmp_lt_i32_e64 s0, 5, v31
	v_and_b32_e32 v31, 0xffff, v36
	v_and_or_b32 v29, 0x8000, v5, v4
	v_lshrrev_b32_e32 v4, 2, v28
	v_lshrrev_b32_e32 v5, v20, v10
	s_or_b32 s0, s1, s0
	v_lshrrev_b32_e32 v28, 16, v11
	s_wait_alu 0xfffe
	v_add_co_ci_u32_e64 v4, s0, 0, v4, s0
	v_lshlrev_b32_e32 v20, v20, v5
	v_cmp_gt_i32_e64 s0, 31, v18
	v_mul_f16_e32 v32, v27, v28
	v_and_or_b32 v16, 0x1ff, v17, v16
	s_wait_alu 0xf1ff
	s_delay_alu instid0(VALU_DEP_3)
	v_cndmask_b32_e64 v33, 0x7c00, v4, s0
	v_cmp_ne_u32_e64 s0, v20, v10
	v_add_nc_u32_e32 v10, 0xfffffc10, v30
	v_fmac_f16_e32 v32, v26, v11
	v_mul_f64_e32 v[0:1], s[4:5], v[0:1]
	v_mul_f16_e32 v11, v27, v11
	s_wait_alu 0xf1ff
	v_cndmask_b32_e64 v4, 0, 1, s0
	v_cmp_ne_u32_e64 s0, 0, v6
	v_cvt_f32_f16_e32 v20, v32
	v_bfe_u32 v27, v17, 20, 11
	v_fma_f16 v11, v26, v28, -v11
	v_or_b32_e32 v4, v5, v4
	s_wait_alu 0xf1ff
	v_cndmask_b32_e64 v6, 0, 1, s0
	v_lshl_or_b32 v5, v10, 12, v14
	v_cmp_gt_i32_e64 s0, 1, v10
	s_delay_alu instid0(VALU_DEP_3) | instskip(SKIP_1) | instid1(VALU_DEP_2)
	v_lshl_or_b32 v6, v6, 9, 0x7c00
	s_wait_alu 0xf1ff
	v_cndmask_b32_e64 v30, v5, v4, s0
	v_cmp_ne_u32_e64 s0, 0, v16
	v_cvt_f64_f32_e32 v[4:5], v20
	v_lshrrev_b32_e32 v20, 8, v17
	s_delay_alu instid0(VALU_DEP_4) | instskip(SKIP_3) | instid1(VALU_DEP_3)
	v_and_b32_e32 v26, 7, v30
	s_wait_alu 0xf1ff
	v_cndmask_b32_e64 v16, 0, 1, s0
	v_cmp_eq_u32_e64 s0, 0x40f, v18
	v_cmp_eq_u32_e64 s1, 3, v26
	s_delay_alu instid0(VALU_DEP_3) | instskip(SKIP_1) | instid1(VALU_DEP_3)
	v_and_or_b32 v16, 0xffe, v20, v16
	s_wait_alu 0xf1ff
	v_cndmask_b32_e64 v18, v33, v6, s0
	v_cvt_f32_f16_e32 v6, v11
	v_sub_nc_u32_e32 v11, 0x3f1, v27
	v_cmp_lt_i32_e64 s0, 5, v26
	v_lshrrev_b32_e32 v20, 16, v7
	v_lshl_or_b32 v26, v29, 16, v31
	v_cvt_f64_f32_e32 v[6:7], v6
	v_lshrrev_b32_e32 v29, 2, v30
	v_or_b32_e32 v28, 0x1000, v16
	v_med3_i32 v11, v11, 0, 13
	s_or_b32 s0, s1, s0
	v_and_or_b32 v18, 0x8000, v20, v18
	s_wait_alu 0xfffe
	v_add_co_ci_u32_e64 v29, s0, 0, v29, s0
	v_lshrrev_b32_e32 v20, v11, v28
	v_cmp_ne_u32_e64 s0, 0, v14
	v_and_or_b32 v0, 0x1ff, v1, v0
	v_add_nc_u32_e32 v27, 0xfffffc10, v27
	v_bfe_u32 v30, v1, 20, 11
	v_lshlrev_b32_e32 v11, v11, v20
	s_wait_alu 0xf1ff
	v_cndmask_b32_e64 v14, 0, 1, s0
	v_cmp_gt_i32_e64 s0, 31, v10
	v_and_b32_e32 v18, 0xffff, v18
	s_delay_alu instid0(VALU_DEP_3) | instskip(SKIP_1) | instid1(VALU_DEP_3)
	v_lshl_or_b32 v14, v14, 9, 0x7c00
	s_wait_alu 0xf1ff
	v_cndmask_b32_e64 v29, 0x7c00, v29, s0
	v_cmp_ne_u32_e64 s0, v11, v28
	v_mul_f64_e32 v[4:5], s[4:5], v[4:5]
	v_lshrrev_b32_e32 v28, 8, v1
	s_wait_alu 0xf1ff
	s_delay_alu instid0(VALU_DEP_3) | instskip(SKIP_1) | instid1(VALU_DEP_2)
	v_cndmask_b32_e64 v11, 0, 1, s0
	v_cmp_ne_u32_e64 s0, 0, v0
	v_or_b32_e32 v11, v20, v11
	s_wait_alu 0xf1ff
	s_delay_alu instid0(VALU_DEP_2) | instskip(SKIP_2) | instid1(VALU_DEP_3)
	v_cndmask_b32_e64 v0, 0, 1, s0
	v_cmp_eq_u32_e64 s0, 0x40f, v10
	v_sub_nc_u32_e32 v20, 0x3f1, v30
	v_and_or_b32 v0, 0xffe, v28, v0
	s_wait_alu 0xf1ff
	s_delay_alu instid0(VALU_DEP_3)
	v_cndmask_b32_e64 v10, v29, v14, s0
	v_lshl_or_b32 v14, v27, 12, v16
	v_cmp_gt_i32_e64 s0, 1, v27
	v_mul_f64_e32 v[6:7], s[4:5], v[6:7]
	v_or_b32_e32 v28, 0x1000, v0
	v_med3_i32 v20, v20, 0, 13
	v_and_or_b32 v15, 0x8000, v15, v10
	s_wait_alu 0xf1ff
	v_cndmask_b32_e64 v14, v14, v11, s0
	v_add_co_u32 v10, s0, v12, s6
	v_lshrrev_b32_e32 v31, v20, v28
	s_wait_alu 0xf1ff
	v_add_co_ci_u32_e64 v11, s0, s7, v13, s0
	v_and_b32_e32 v29, 7, v14
	v_lshrrev_b32_e32 v14, 2, v14
	v_lshlrev_b32_e32 v20, v20, v31
	v_lshl_or_b32 v18, v15, 16, v18
	s_delay_alu instid0(VALU_DEP_4) | instskip(SKIP_1) | instid1(VALU_DEP_4)
	v_cmp_lt_i32_e64 s0, 5, v29
	v_cmp_eq_u32_e64 s1, 3, v29
	v_cmp_ne_u32_e64 s2, v20, v28
	v_add_nc_u32_e32 v20, 0xfffffc10, v30
	v_and_or_b32 v4, 0x1ff, v5, v4
	v_bfe_u32 v29, v5, 20, 11
	s_or_b32 s0, s1, s0
	v_cndmask_b32_e64 v15, 0, 1, s2
	s_wait_alu 0xfffe
	v_add_co_ci_u32_e64 v14, s0, 0, v14, s0
	v_cmp_ne_u32_e64 s0, 0, v16
	v_lshl_or_b32 v28, v20, 12, v0
	v_or_b32_e32 v15, v31, v15
	s_wait_alu 0xf1ff
	s_delay_alu instid0(VALU_DEP_3) | instskip(SKIP_1) | instid1(VALU_DEP_2)
	v_cndmask_b32_e64 v16, 0, 1, s0
	v_cmp_gt_i32_e64 s0, 31, v27
	v_lshl_or_b32 v16, v16, 9, 0x7c00
	s_wait_alu 0xf1ff
	s_delay_alu instid0(VALU_DEP_2) | instskip(SKIP_4) | instid1(VALU_DEP_3)
	v_cndmask_b32_e64 v14, 0x7c00, v14, s0
	v_cmp_gt_i32_e64 s0, 1, v20
	v_and_or_b32 v6, 0x1ff, v7, v6
	v_bfe_u32 v30, v7, 20, 11
	s_wait_alu 0xf1ff
	v_cndmask_b32_e64 v15, v28, v15, s0
	v_cmp_ne_u32_e64 s0, 0, v4
	v_lshrrev_b32_e32 v28, 8, v5
	v_cmp_ne_u32_e64 s1, 0, v6
	v_lshrrev_b32_e32 v5, 16, v5
	s_wait_alu 0xf1ff
	v_cndmask_b32_e64 v4, 0, 1, s0
	v_cmp_eq_u32_e64 s0, 0x40f, v27
	v_sub_nc_u32_e32 v27, 0x3f1, v29
	v_cndmask_b32_e64 v6, 0, 1, s1
	v_add_nc_u32_e32 v29, 0xfffffc10, v29
	v_and_or_b32 v4, 0xffe, v28, v4
	s_wait_alu 0xf1ff
	v_cndmask_b32_e64 v14, v14, v16, s0
	v_lshrrev_b32_e32 v16, 16, v17
	v_and_b32_e32 v17, 7, v15
	v_lshrrev_b32_e32 v15, 2, v15
	v_lshl_or_b32 v33, v29, 12, v4
	v_cmp_gt_i32_e64 s2, 31, v29
	v_and_or_b32 v28, 0x8000, v16, v14
	v_or_b32_e32 v14, 0x1000, v4
	v_med3_i32 v16, v27, 0, 13
	v_cmp_lt_i32_e64 s0, 5, v17
	v_cmp_eq_u32_e64 s1, 3, v17
	v_lshrrev_b32_e32 v27, 8, v7
	v_lshrrev_b32_e32 v7, 16, v7
	;; [unrolled: 1-line block ×3, first 2 shown]
	s_delay_alu instid0(VALU_DEP_4) | instskip(NEXT) | instid1(VALU_DEP_3)
	s_or_b32 s0, s1, s0
	v_and_or_b32 v6, 0xffe, v27, v6
	s_wait_alu 0xfffe
	v_add_co_ci_u32_e64 v15, s0, 0, v15, s0
	v_sub_nc_u32_e32 v27, 0x3f1, v30
	v_lshlrev_b32_e32 v16, v16, v17
	v_cmp_ne_u32_e64 s0, 0, v0
	v_or_b32_e32 v31, 0x1000, v6
	v_add_nc_u32_e32 v30, 0xfffffc10, v30
	v_med3_i32 v27, v27, 0, 13
	s_wait_alu 0xf1ff
	v_cndmask_b32_e64 v0, 0, 1, s0
	v_cmp_ne_u32_e64 s0, v16, v14
	v_cmp_gt_i32_e64 s1, 1, v30
	v_lshrrev_b32_e32 v16, v27, v31
	s_delay_alu instid0(VALU_DEP_4) | instskip(SKIP_4) | instid1(VALU_DEP_3)
	v_lshl_or_b32 v0, v0, 9, 0x7c00
	s_wait_alu 0xf1ff
	v_cndmask_b32_e64 v14, 0, 1, s0
	v_cmp_gt_i32_e64 s0, 31, v20
	v_lshlrev_b32_e32 v27, v27, v16
	v_or_b32_e32 v17, v17, v14
	s_wait_alu 0xf1ff
	s_delay_alu instid0(VALU_DEP_3) | instskip(SKIP_3) | instid1(VALU_DEP_2)
	v_cndmask_b32_e64 v32, 0x7c00, v15, s0
	v_cmp_gt_i32_e64 s0, 1, v29
	v_mad_co_u64_u32 v[14:15], null, s24, v25, 0
	s_wait_alu 0xf1ff
	v_cndmask_b32_e64 v17, v33, v17, s0
	v_cmp_ne_u32_e64 s0, v27, v31
	s_delay_alu instid0(VALU_DEP_2) | instskip(SKIP_1) | instid1(VALU_DEP_2)
	v_and_b32_e32 v31, 7, v17
	s_wait_alu 0xf1ff
	v_cndmask_b32_e64 v27, 0, 1, s0
	v_cmp_eq_u32_e64 s0, 0x40f, v20
	s_delay_alu instid0(VALU_DEP_2) | instskip(SKIP_1) | instid1(VALU_DEP_2)
	v_or_b32_e32 v27, v16, v27
	s_wait_alu 0xf1ff
	v_cndmask_b32_e64 v20, v32, v0, s0
	v_mov_b32_e32 v0, v15
	v_lshl_or_b32 v32, v30, 12, v6
	v_cmp_lt_i32_e64 s0, 5, v31
	s_delay_alu instid0(VALU_DEP_3) | instskip(SKIP_1) | instid1(VALU_DEP_4)
	v_mad_co_u64_u32 v[15:16], null, s25, v25, v[0:1]
	v_lshrrev_b32_e32 v0, 16, v1
	v_cndmask_b32_e64 v1, v32, v27, s1
	v_cmp_eq_u32_e64 s1, 3, v31
	s_delay_alu instid0(VALU_DEP_3) | instskip(SKIP_1) | instid1(VALU_DEP_3)
	v_and_or_b32 v16, 0x8000, v0, v20
	v_lshrrev_b32_e32 v0, 2, v17
	s_or_b32 s0, s1, s0
	v_and_b32_e32 v17, 7, v1
	v_lshrrev_b32_e32 v1, 2, v1
	v_and_b32_e32 v20, 0xffff, v28
	s_wait_alu 0xfffe
	v_add_co_ci_u32_e64 v0, s0, 0, v0, s0
	v_cmp_ne_u32_e64 s0, 0, v4
	v_cmp_eq_u32_e64 s1, 3, v17
	s_delay_alu instid0(VALU_DEP_3) | instskip(SKIP_1) | instid1(VALU_DEP_3)
	v_cndmask_b32_e64 v0, 0x7c00, v0, s2
	s_wait_alu 0xf1ff
	v_cndmask_b32_e64 v4, 0, 1, s0
	v_cmp_lt_i32_e64 s0, 5, v17
	s_delay_alu instid0(VALU_DEP_2) | instskip(NEXT) | instid1(VALU_DEP_2)
	v_lshl_or_b32 v4, v4, 9, 0x7c00
	s_or_b32 s0, s1, s0
	s_wait_alu 0xfffe
	v_add_co_ci_u32_e64 v1, s0, 0, v1, s0
	v_cmp_ne_u32_e64 s0, 0, v6
	s_wait_alu 0xf1ff
	s_delay_alu instid0(VALU_DEP_1) | instskip(SKIP_1) | instid1(VALU_DEP_2)
	v_cndmask_b32_e64 v6, 0, 1, s0
	v_cmp_eq_u32_e64 s0, 0x40f, v29
	v_lshl_or_b32 v6, v6, 9, 0x7c00
	s_wait_alu 0xf1ff
	s_delay_alu instid0(VALU_DEP_2) | instskip(SKIP_2) | instid1(VALU_DEP_1)
	v_cndmask_b32_e64 v4, v0, v4, s0
	v_cmp_gt_i32_e64 s0, 31, v30
	s_wait_alu 0xf1ff
	v_cndmask_b32_e64 v17, 0x7c00, v1, s0
	v_cmp_eq_u32_e64 s0, 0x40f, v30
	v_lshlrev_b64_e32 v[0:1], 2, v[14:15]
	v_and_or_b32 v14, 0x8000, v5, v4
	v_lshl_or_b32 v15, v16, 16, v20
	s_wait_alu 0xf1ff
	v_cndmask_b32_e64 v6, v17, v6, s0
	v_add_co_u32 v4, s0, v10, s6
	s_wait_alu 0xf1ff
	v_add_co_ci_u32_e64 v5, s0, s7, v11, s0
	s_delay_alu instid0(VALU_DEP_3)
	v_and_or_b32 v16, 0x8000, v7, v6
	v_add_co_u32 v6, s0, v2, v0
	s_wait_alu 0xf1ff
	v_add_co_ci_u32_e64 v7, s0, v3, v1, s0
	s_mul_u64 s[0:1], s[24:25], 40
	v_and_b32_e32 v14, 0xffff, v14
	s_wait_alu 0xfffe
	s_lshl_b64 s[22:23], s[0:1], 2
	s_delay_alu instid0(SALU_CYCLE_1)
	v_add_co_u32 v0, s0, v4, s22
	s_wait_alu 0xf1ff
	v_add_co_ci_u32_e64 v1, s0, s23, v5, s0
	v_lshl_or_b32 v14, v16, 16, v14
	s_clause 0x4
	global_store_b32 v[12:13], v19, off
	global_store_b32 v[10:11], v26, off
	global_store_b32 v[4:5], v18, off
	global_store_b32 v[6:7], v15, off
	global_store_b32 v[0:1], v14, off
	s_and_b32 exec_lo, exec_lo, vcc_lo
	s_cbranch_execz .LBB0_15
; %bb.14:
	s_clause 0x5
	global_load_b32 v12, v[8:9], off offset:48
	global_load_b32 v13, v[8:9], off offset:128
	;; [unrolled: 1-line block ×6, first 2 shown]
	ds_load_2addr_b32 v[4:5], v24 offset0:12 offset1:32
	ds_load_2addr_b32 v[6:7], v24 offset0:52 offset1:72
	;; [unrolled: 1-line block ×3, first 2 shown]
	v_mad_co_u64_u32 v[10:11], null, s24, v22, 0
	v_mad_co_u64_u32 v[0:1], null, 0xfffffea0, s24, v[0:1]
	s_mul_i32 s0, s25, 0xfffffea0
	s_wait_alu 0xfffe
	s_sub_co_i32 s0, s0, s24
	s_wait_alu 0xfffe
	s_delay_alu instid0(VALU_DEP_1)
	v_add_nc_u32_e32 v1, s0, v1
	s_wait_dscnt 0x2
	v_lshrrev_b32_e32 v14, 16, v4
	v_lshrrev_b32_e32 v15, 16, v5
	s_wait_dscnt 0x1
	v_lshrrev_b32_e32 v17, 16, v6
	v_lshrrev_b32_e32 v19, 16, v7
	;; [unrolled: 3-line block ×3, first 2 shown]
	s_wait_loadcnt 0x5
	v_lshrrev_b32_e32 v24, 16, v12
	s_wait_loadcnt 0x4
	v_lshrrev_b32_e32 v25, 16, v13
	;; [unrolled: 2-line block ×5, first 2 shown]
	v_mul_f16_e32 v30, v14, v24
	v_mul_f16_e32 v24, v4, v24
	;; [unrolled: 1-line block ×4, first 2 shown]
	s_wait_loadcnt 0x0
	v_lshrrev_b32_e32 v33, 16, v26
	v_fmac_f16_e32 v30, v4, v12
	v_fma_f16 v4, v12, v14, -v24
	v_fmac_f16_e32 v34, v5, v13
	v_fma_f16 v15, v13, v15, -v25
	v_mul_f16_e32 v24, v17, v29
	v_cvt_f32_f16_e32 v12, v30
	v_cvt_f32_f16_e32 v14, v4
	;; [unrolled: 1-line block ×3, first 2 shown]
	v_mul_f16_e32 v29, v6, v29
	v_fmac_f16_e32 v24, v6, v16
	v_cvt_f64_f32_e32 v[4:5], v12
	v_cvt_f64_f32_e32 v[12:13], v14
	v_cvt_f32_f16_e32 v6, v15
	v_cvt_f64_f32_e32 v[14:15], v25
	v_mul_f16_e32 v30, v19, v31
	v_fma_f16 v25, v16, v17, -v29
	v_cvt_f32_f16_e32 v24, v24
	v_cvt_f64_f32_e32 v[16:17], v6
	v_mul_f16_e32 v31, v7, v31
	v_fmac_f16_e32 v30, v7, v18
	v_cvt_f32_f16_e32 v25, v25
	v_cvt_f64_f32_e32 v[6:7], v24
	v_mul_f16_e32 v34, v27, v32
	v_fma_f16 v24, v18, v19, -v31
	v_cvt_f32_f16_e32 v30, v30
	v_cvt_f64_f32_e32 v[18:19], v25
	v_mul_f16_e32 v29, v8, v32
	v_mul_f16_e32 v32, v28, v33
	v_fmac_f16_e32 v34, v8, v20
	v_mul_f16_e32 v8, v9, v33
	v_cvt_f32_f16_e32 v31, v24
	v_cvt_f64_f32_e32 v[24:25], v30
	v_fma_f16 v20, v20, v27, -v29
	v_cvt_f32_f16_e32 v27, v34
	v_fmac_f16_e32 v32, v9, v26
	v_fma_f16 v28, v26, v28, -v8
	v_cvt_f64_f32_e32 v[8:9], v31
	v_cvt_f32_f16_e32 v20, v20
	v_cvt_f64_f32_e32 v[26:27], v27
	v_cvt_f32_f16_e32 v32, v32
	v_cvt_f32_f16_e32 v34, v28
	v_mad_co_u64_u32 v[28:29], null, s24, v23, 0
	v_cvt_f64_f32_e32 v[30:31], v20
	s_delay_alu instid0(VALU_DEP_4) | instskip(NEXT) | instid1(VALU_DEP_4)
	v_cvt_f64_f32_e32 v[32:33], v32
	v_cvt_f64_f32_e32 v[34:35], v34
	v_mul_f64_e32 v[4:5], s[4:5], v[4:5]
	v_mul_f64_e32 v[12:13], s[4:5], v[12:13]
	;; [unrolled: 1-line block ×11, first 2 shown]
	v_and_or_b32 v4, 0x1ff, v5, v4
	v_mad_co_u64_u32 v[36:37], null, s25, v22, v[11:12]
	v_mov_b32_e32 v20, v29
	v_and_or_b32 v12, 0x1ff, v13, v12
	v_and_or_b32 v14, 0x1ff, v15, v14
	v_lshrrev_b32_e32 v37, 8, v13
	v_and_or_b32 v16, 0x1ff, v17, v16
	v_bfe_u32 v38, v13, 20, 11
	v_mov_b32_e32 v11, v36
	v_mad_co_u64_u32 v[22:23], null, s25, v23, v[20:21]
	v_bfe_u32 v36, v5, 20, 11
	v_and_or_b32 v6, 0x1ff, v7, v6
	s_delay_alu instid0(VALU_DEP_4)
	v_lshlrev_b64_e32 v[10:11], 2, v[10:11]
	v_and_or_b32 v18, 0x1ff, v19, v18
	v_lshrrev_b32_e32 v20, 8, v5
	v_lshrrev_b32_e32 v39, 8, v15
	v_mov_b32_e32 v29, v22
	v_mul_f64_e32 v[22:23], s[4:5], v[24:25]
	v_add_co_u32 v24, vcc_lo, v0, s22
	s_wait_alu 0xfffd
	v_add_co_ci_u32_e32 v25, vcc_lo, s23, v1, vcc_lo
	v_add_co_u32 v10, vcc_lo, v2, v10
	s_wait_alu 0xfffd
	v_add_co_ci_u32_e32 v11, vcc_lo, v3, v11, vcc_lo
	v_cmp_ne_u32_e32 vcc_lo, 0, v4
	v_and_or_b32 v8, 0x1ff, v9, v8
	v_and_or_b32 v26, 0x1ff, v27, v26
	v_bfe_u32 v40, v15, 20, 11
	v_bfe_u32 v42, v17, 20, 11
	s_wait_alu 0xfffd
	v_cndmask_b32_e64 v4, 0, 1, vcc_lo
	v_cmp_ne_u32_e32 vcc_lo, 0, v12
	v_and_or_b32 v30, 0x1ff, v31, v30
	v_and_or_b32 v32, 0x1ff, v33, v32
	;; [unrolled: 1-line block ×4, first 2 shown]
	s_wait_alu 0xfffd
	v_cndmask_b32_e64 v12, 0, 1, vcc_lo
	v_cmp_ne_u32_e32 vcc_lo, 0, v14
	v_sub_nc_u32_e32 v59, 0x3f1, v36
	v_add_nc_u32_e32 v36, 0xfffffc10, v36
	v_sub_nc_u32_e32 v60, 0x3f1, v38
	v_and_or_b32 v12, 0xffe, v37, v12
	s_wait_alu 0xfffd
	v_cndmask_b32_e64 v14, 0, 1, vcc_lo
	v_cmp_ne_u32_e32 vcc_lo, 0, v16
	v_lshrrev_b32_e32 v41, 8, v17
	v_bfe_u32 v44, v7, 20, 11
	v_bfe_u32 v46, v19, 20, 11
	v_add_nc_u32_e32 v38, 0xfffffc10, v38
	s_wait_alu 0xfffd
	v_cndmask_b32_e64 v16, 0, 1, vcc_lo
	v_cmp_ne_u32_e32 vcc_lo, 0, v6
	v_sub_nc_u32_e32 v61, 0x3f1, v40
	v_sub_nc_u32_e32 v62, 0x3f1, v42
	v_med3_i32 v20, v59, 0, 13
	v_med3_i32 v37, v60, 0, 13
	v_and_or_b32 v22, 0x1ff, v23, v22
	s_wait_alu 0xfffd
	v_cndmask_b32_e64 v6, 0, 1, vcc_lo
	v_cmp_ne_u32_e32 vcc_lo, 0, v18
	v_and_or_b32 v14, 0xffe, v39, v14
	v_or_b32_e32 v59, 0x1000, v4
	v_lshl_or_b32 v60, v36, 12, v4
	v_lshrrev_b32_e32 v43, 8, v7
	s_wait_alu 0xfffd
	v_cndmask_b32_e64 v18, 0, 1, vcc_lo
	v_cmp_ne_u32_e32 vcc_lo, 0, v22
	v_lshrrev_b32_e32 v45, 8, v19
	v_bfe_u32 v48, v23, 20, 11
	v_bfe_u32 v50, v9, 20, 11
	v_add_nc_u32_e32 v40, 0xfffffc10, v40
	s_wait_alu 0xfffd
	v_cndmask_b32_e64 v22, 0, 1, vcc_lo
	v_cmp_ne_u32_e32 vcc_lo, 0, v8
	v_sub_nc_u32_e32 v63, 0x3f1, v44
	v_sub_nc_u32_e32 v64, 0x3f1, v46
	v_med3_i32 v39, v61, 0, 13
	v_and_or_b32 v16, 0xffe, v41, v16
	s_wait_alu 0xfffd
	v_cndmask_b32_e64 v8, 0, 1, vcc_lo
	v_cmp_ne_u32_e32 vcc_lo, 0, v26
	v_med3_i32 v41, v62, 0, 13
	v_or_b32_e32 v61, 0x1000, v12
	v_lshl_or_b32 v62, v38, 12, v12
	v_lshrrev_b32_e32 v47, 8, v23
	s_wait_alu 0xfffd
	v_cndmask_b32_e64 v26, 0, 1, vcc_lo
	v_cmp_ne_u32_e32 vcc_lo, 0, v30
	v_lshrrev_b32_e32 v49, 8, v9
	v_bfe_u32 v52, v27, 20, 11
	v_bfe_u32 v54, v31, 20, 11
	v_add_nc_u32_e32 v42, 0xfffffc10, v42
	s_wait_alu 0xfffd
	v_cndmask_b32_e64 v30, 0, 1, vcc_lo
	v_cmp_ne_u32_e32 vcc_lo, 0, v32
	v_sub_nc_u32_e32 v65, 0x3f1, v48
	v_sub_nc_u32_e32 v66, 0x3f1, v50
	v_and_or_b32 v6, 0xffe, v43, v6
	v_med3_i32 v43, v63, 0, 13
	s_wait_alu 0xfffd
	v_cndmask_b32_e64 v32, 0, 1, vcc_lo
	v_cmp_ne_u32_e32 vcc_lo, 0, v34
	v_and_or_b32 v18, 0xffe, v45, v18
	v_med3_i32 v45, v64, 0, 13
	v_or_b32_e32 v63, 0x1000, v14
	v_lshl_or_b32 v64, v40, 12, v14
	s_wait_alu 0xfffd
	v_cndmask_b32_e64 v34, 0, 1, vcc_lo
	v_cmp_ne_u32_e32 vcc_lo, 0, v4
	v_lshrrev_b32_e32 v51, 8, v27
	v_lshrrev_b32_e32 v53, 8, v31
	v_bfe_u32 v56, v33, 20, 11
	v_bfe_u32 v58, v35, 20, 11
	s_wait_alu 0xfffd
	v_cndmask_b32_e64 v4, 0, 1, vcc_lo
	v_cmp_ne_u32_e32 vcc_lo, 0, v12
	v_add_nc_u32_e32 v44, 0xfffffc10, v44
	v_sub_nc_u32_e32 v67, 0x3f1, v52
	v_sub_nc_u32_e32 v68, 0x3f1, v54
	v_and_or_b32 v22, 0xffe, v47, v22
	s_wait_alu 0xfffd
	v_cndmask_b32_e64 v12, 0, 1, vcc_lo
	v_cmp_ne_u32_e32 vcc_lo, 0, v14
	v_med3_i32 v47, v65, 0, 13
	v_and_or_b32 v8, 0xffe, v49, v8
	v_med3_i32 v49, v66, 0, 13
	v_or_b32_e32 v65, 0x1000, v16
	s_wait_alu 0xfffd
	v_cndmask_b32_e64 v14, 0, 1, vcc_lo
	v_cmp_ne_u32_e32 vcc_lo, 0, v16
	v_lshl_or_b32 v66, v42, 12, v16
	v_lshrrev_b32_e32 v55, 8, v33
	v_lshrrev_b32_e32 v57, 8, v35
	v_add_nc_u32_e32 v46, 0xfffffc10, v46
	s_wait_alu 0xfffd
	v_cndmask_b32_e64 v16, 0, 1, vcc_lo
	v_cmp_ne_u32_e32 vcc_lo, 0, v6
	v_sub_nc_u32_e32 v69, 0x3f1, v56
	v_sub_nc_u32_e32 v70, 0x3f1, v58
	v_and_or_b32 v26, 0xffe, v51, v26
	v_med3_i32 v51, v67, 0, 13
	v_and_or_b32 v30, 0xffe, v53, v30
	v_med3_i32 v53, v68, 0, 13
	v_or_b32_e32 v67, 0x1000, v6
	v_lshl_or_b32 v68, v44, 12, v6
	s_wait_alu 0xfffd
	v_cndmask_b32_e64 v6, 0, 1, vcc_lo
	v_cmp_ne_u32_e32 vcc_lo, 0, v18
	v_add_nc_u32_e32 v48, 0xfffffc10, v48
	v_and_or_b32 v32, 0xffe, v55, v32
	v_med3_i32 v55, v69, 0, 13
	v_and_or_b32 v34, 0xffe, v57, v34
	v_med3_i32 v57, v70, 0, 13
	v_or_b32_e32 v69, 0x1000, v18
	v_lshl_or_b32 v70, v46, 12, v18
	s_wait_alu 0xfffd
	v_cndmask_b32_e64 v18, 0, 1, vcc_lo
	v_cmp_ne_u32_e32 vcc_lo, 0, v22
	v_add_nc_u32_e32 v50, 0xfffffc10, v50
	v_or_b32_e32 v71, 0x1000, v22
	v_lshl_or_b32 v72, v48, 12, v22
	v_add_nc_u32_e32 v52, 0xfffffc10, v52
	s_wait_alu 0xfffd
	v_cndmask_b32_e64 v22, 0, 1, vcc_lo
	v_cmp_ne_u32_e32 vcc_lo, 0, v8
	v_or_b32_e32 v73, 0x1000, v8
	v_lshl_or_b32 v74, v50, 12, v8
	v_add_nc_u32_e32 v54, 0xfffffc10, v54
	v_or_b32_e32 v75, 0x1000, v26
	s_wait_alu 0xfffd
	v_cndmask_b32_e64 v8, 0, 1, vcc_lo
	v_cmp_ne_u32_e32 vcc_lo, 0, v26
	v_lshl_or_b32 v76, v52, 12, v26
	v_lshrrev_b32_e32 v83, v20, v59
	v_add_nc_u32_e32 v56, 0xfffffc10, v56
	v_or_b32_e32 v77, 0x1000, v30
	s_wait_alu 0xfffd
	v_cndmask_b32_e64 v26, 0, 1, vcc_lo
	v_cmp_ne_u32_e32 vcc_lo, 0, v30
	v_lshl_or_b32 v78, v54, 12, v30
	v_lshrrev_b32_e32 v84, v37, v61
	v_lshlrev_b32_e32 v20, v20, v83
	v_or_b32_e32 v79, 0x1000, v32
	s_wait_alu 0xfffd
	v_cndmask_b32_e64 v30, 0, 1, vcc_lo
	v_cmp_ne_u32_e32 vcc_lo, 0, v32
	v_lshl_or_b32 v80, v56, 12, v32
	v_lshrrev_b32_e32 v85, v39, v63
	v_lshl_or_b32 v14, v14, 9, 0x7c00
	v_lshlrev_b32_e32 v37, v37, v84
	s_wait_alu 0xfffd
	v_cndmask_b32_e64 v32, 0, 1, vcc_lo
	v_cmp_ne_u32_e32 vcc_lo, v20, v59
	v_lshrrev_b32_e32 v86, v41, v65
	v_lshlrev_b32_e32 v39, v39, v85
	v_lshl_or_b32 v4, v4, 9, 0x7c00
	v_lshrrev_b32_e32 v87, v43, v67
	s_wait_alu 0xfffd
	v_cndmask_b32_e64 v20, 0, 1, vcc_lo
	v_cmp_ne_u32_e32 vcc_lo, v37, v61
	v_lshlrev_b32_e32 v41, v41, v86
	v_lshl_or_b32 v12, v12, 9, 0x7c00
	v_lshrrev_b32_e32 v88, v45, v69
	v_lshlrev_b32_e32 v43, v43, v87
	s_wait_alu 0xfffd
	v_cndmask_b32_e64 v37, 0, 1, vcc_lo
	v_cmp_ne_u32_e32 vcc_lo, v39, v63
	v_lshl_or_b32 v6, v6, 9, 0x7c00
	v_lshrrev_b32_e32 v89, v47, v71
	v_lshlrev_b32_e32 v45, v45, v88
	v_lshl_or_b32 v16, v16, 9, 0x7c00
	s_wait_alu 0xfffd
	v_cndmask_b32_e64 v39, 0, 1, vcc_lo
	v_cmp_ne_u32_e32 vcc_lo, v41, v65
	v_lshrrev_b32_e32 v90, v49, v73
	v_lshlrev_b32_e32 v47, v47, v89
	v_lshrrev_b32_e32 v91, v51, v75
	v_lshl_or_b32 v18, v18, 9, 0x7c00
	s_wait_alu 0xfffd
	v_cndmask_b32_e64 v41, 0, 1, vcc_lo
	v_cmp_ne_u32_e32 vcc_lo, v43, v67
	v_lshlrev_b32_e32 v49, v49, v90
	v_lshrrev_b32_e32 v92, v53, v77
	v_lshlrev_b32_e32 v51, v51, v91
	v_or_b32_e32 v81, 0x1000, v34
	s_wait_alu 0xfffd
	v_cndmask_b32_e64 v43, 0, 1, vcc_lo
	v_cmp_ne_u32_e32 vcc_lo, v45, v69
	v_lshl_or_b32 v22, v22, 9, 0x7c00
	v_lshrrev_b32_e32 v93, v55, v79
	v_lshlrev_b32_e32 v53, v53, v92
	v_lshl_or_b32 v8, v8, 9, 0x7c00
	s_wait_alu 0xfffd
	v_cndmask_b32_e64 v45, 0, 1, vcc_lo
	v_cmp_ne_u32_e32 vcc_lo, v47, v71
	v_lshrrev_b32_e32 v94, v57, v81
	v_lshlrev_b32_e32 v55, v55, v93
	v_or_b32_e32 v20, v83, v20
	v_or_b32_e32 v37, v84, v37
	s_wait_alu 0xfffd
	v_cndmask_b32_e64 v47, 0, 1, vcc_lo
	v_cmp_ne_u32_e32 vcc_lo, v49, v73
	v_lshlrev_b32_e32 v57, v57, v94
	v_or_b32_e32 v39, v85, v39
	v_or_b32_e32 v41, v86, v41
	;; [unrolled: 1-line block ×3, first 2 shown]
	s_wait_alu 0xfffd
	v_cndmask_b32_e64 v49, 0, 1, vcc_lo
	v_cmp_ne_u32_e32 vcc_lo, v51, v75
	v_or_b32_e32 v45, v88, v45
	v_or_b32_e32 v47, v89, v47
	v_lshl_or_b32 v26, v26, 9, 0x7c00
	v_or_b32_e32 v49, v90, v49
	s_wait_alu 0xfffd
	v_cndmask_b32_e64 v51, 0, 1, vcc_lo
	v_cmp_ne_u32_e32 vcc_lo, v53, v77
	v_lshl_or_b32 v30, v30, 9, 0x7c00
	v_lshrrev_b32_e32 v5, 16, v5
	v_lshrrev_b32_e32 v13, 16, v13
	v_or_b32_e32 v51, v91, v51
	s_wait_alu 0xfffd
	v_cndmask_b32_e64 v53, 0, 1, vcc_lo
	v_cmp_ne_u32_e32 vcc_lo, v55, v79
	v_lshrrev_b32_e32 v15, 16, v15
	v_lshrrev_b32_e32 v7, 16, v7
	v_lshrrev_b32_e32 v17, 16, v17
	v_or_b32_e32 v53, v92, v53
	s_wait_alu 0xfffd
	v_cndmask_b32_e64 v55, 0, 1, vcc_lo
	v_cmp_ne_u32_e32 vcc_lo, v57, v81
	v_lshrrev_b32_e32 v19, 16, v19
	v_lshrrev_b32_e32 v9, 16, v9
	;; [unrolled: 1-line block ×3, first 2 shown]
	v_or_b32_e32 v55, v93, v55
	s_wait_alu 0xfffd
	v_cndmask_b32_e64 v57, 0, 1, vcc_lo
	v_cmp_gt_i32_e32 vcc_lo, 1, v36
	v_lshrrev_b32_e32 v27, 16, v27
	v_lshrrev_b32_e32 v31, 16, v31
	v_lshlrev_b64_e32 v[28:29], 2, v[28:29]
	v_or_b32_e32 v57, v94, v57
	s_wait_alu 0xfffd
	v_cndmask_b32_e32 v20, v60, v20, vcc_lo
	v_cmp_gt_i32_e32 vcc_lo, 1, v38
	v_add_nc_u32_e32 v58, 0xfffffc10, v58
	s_delay_alu instid0(VALU_DEP_3)
	v_and_b32_e32 v59, 7, v20
	s_wait_alu 0xfffd
	v_cndmask_b32_e32 v37, v62, v37, vcc_lo
	v_cmp_gt_i32_e32 vcc_lo, 1, v40
	v_lshl_or_b32 v82, v58, 12, v34
	v_lshrrev_b32_e32 v20, 2, v20
	v_cmp_eq_u32_e64 s0, 3, v59
	s_wait_alu 0xfffd
	v_dual_cndmask_b32 v39, v64, v39 :: v_dual_and_b32 v60, 7, v37
	v_cmp_gt_i32_e32 vcc_lo, 1, v42
	v_lshrrev_b32_e32 v37, 2, v37
	s_delay_alu instid0(VALU_DEP_3) | instskip(NEXT) | instid1(VALU_DEP_4)
	v_cmp_lt_i32_e64 s1, 5, v60
	v_and_b32_e32 v61, 7, v39
	s_wait_alu 0xfffd
	v_cndmask_b32_e32 v41, v66, v41, vcc_lo
	v_cmp_gt_i32_e32 vcc_lo, 1, v44
	v_cmp_eq_u32_e64 s2, 3, v60
	v_lshrrev_b32_e32 v39, 2, v39
	v_cmp_lt_i32_e64 s3, 5, v61
	s_wait_alu 0xfffd
	v_dual_cndmask_b32 v43, v68, v43 :: v_dual_and_b32 v62, 7, v41
	v_cmp_gt_i32_e32 vcc_lo, 1, v46
	v_cmp_eq_u32_e64 s4, 3, v61
	v_lshrrev_b32_e32 v41, 2, v41
	s_delay_alu instid0(VALU_DEP_4)
	v_cmp_lt_i32_e64 s5, 5, v62
	v_and_b32_e32 v63, 7, v43
	s_wait_alu 0xfffd
	v_cndmask_b32_e32 v45, v70, v45, vcc_lo
	v_cmp_gt_i32_e32 vcc_lo, 1, v48
	v_cmp_eq_u32_e64 s6, 3, v62
	v_lshrrev_b32_e32 v43, 2, v43
	v_cmp_lt_i32_e64 s7, 5, v63
	s_wait_alu 0xfffd
	v_dual_cndmask_b32 v47, v72, v47 :: v_dual_and_b32 v64, 7, v45
	v_cmp_gt_i32_e32 vcc_lo, 1, v50
	v_cmp_eq_u32_e64 s8, 3, v63
	v_lshrrev_b32_e32 v45, 2, v45
	s_delay_alu instid0(VALU_DEP_4)
	;; [unrolled: 14-line block ×4, first 2 shown]
	v_cmp_lt_i32_e64 s17, 5, v68
	v_and_b32_e32 v69, 7, v55
	s_wait_alu 0xfffd
	v_cndmask_b32_e32 v57, v82, v57, vcc_lo
	v_cmp_lt_i32_e32 vcc_lo, 5, v59
	v_cmp_eq_u32_e64 s18, 3, v68
	v_lshrrev_b32_e32 v55, 2, v55
	v_cmp_lt_i32_e64 s19, 5, v69
	v_cmp_eq_u32_e64 s20, 3, v69
	s_or_b32 vcc_lo, s0, vcc_lo
	v_and_b32_e32 v70, 7, v57
	s_wait_alu 0xfffe
	v_add_co_ci_u32_e32 v20, vcc_lo, 0, v20, vcc_lo
	s_or_b32 vcc_lo, s2, s1
	v_cmp_eq_u32_e64 s1, 0x40f, v56
	s_wait_alu 0xfffe
	v_add_co_ci_u32_e32 v37, vcc_lo, 0, v37, vcc_lo
	s_or_b32 vcc_lo, s4, s3
	v_cmp_eq_u32_e64 s0, 3, v70
	s_wait_alu 0xfffe
	v_add_co_ci_u32_e32 v39, vcc_lo, 0, v39, vcc_lo
	s_or_b32 vcc_lo, s6, s5
	s_wait_alu 0xfffe
	v_add_co_ci_u32_e32 v41, vcc_lo, 0, v41, vcc_lo
	s_or_b32 vcc_lo, s8, s7
	;; [unrolled: 3-line block ×8, first 2 shown]
	s_wait_alu 0xfffe
	v_add_co_ci_u32_e32 v55, vcc_lo, 0, v55, vcc_lo
	v_cmp_gt_i32_e32 vcc_lo, 31, v36
	s_wait_alu 0xfffd
	v_cndmask_b32_e32 v20, 0x7c00, v20, vcc_lo
	v_cmp_gt_i32_e32 vcc_lo, 31, v38
	s_wait_alu 0xfffd
	v_cndmask_b32_e32 v37, 0x7c00, v37, vcc_lo
	;; [unrolled: 3-line block ×10, first 2 shown]
	v_cmp_eq_u32_e32 vcc_lo, 0x40f, v36
	s_wait_alu 0xfffd
	v_cndmask_b32_e32 v4, v20, v4, vcc_lo
	v_cmp_eq_u32_e32 vcc_lo, 0x40f, v38
	s_delay_alu instid0(VALU_DEP_2) | instskip(SKIP_3) | instid1(VALU_DEP_3)
	v_and_or_b32 v4, 0x8000, v5, v4
	s_wait_alu 0xfffd
	v_cndmask_b32_e32 v12, v37, v12, vcc_lo
	v_cmp_eq_u32_e32 vcc_lo, 0x40f, v40
	v_and_b32_e32 v4, 0xffff, v4
	s_delay_alu instid0(VALU_DEP_3) | instskip(SKIP_3) | instid1(VALU_DEP_3)
	v_and_or_b32 v5, 0x8000, v13, v12
	s_wait_alu 0xfffd
	v_cndmask_b32_e32 v14, v39, v14, vcc_lo
	v_cmp_eq_u32_e32 vcc_lo, 0x40f, v42
	v_lshl_or_b32 v4, v5, 16, v4
	s_delay_alu instid0(VALU_DEP_3)
	v_and_or_b32 v12, 0x8000, v15, v14
	s_wait_alu 0xfffd
	v_cndmask_b32_e32 v16, v41, v16, vcc_lo
	v_cmp_eq_u32_e32 vcc_lo, 0x40f, v44
	v_lshl_or_b32 v5, v32, 9, 0x7c00
	global_store_b32 v[0:1], v4, off
	v_mad_co_u64_u32 v[0:1], null, s24, v21, 0
	s_wait_alu 0xfffd
	v_cndmask_b32_e32 v6, v43, v6, vcc_lo
	v_cmp_eq_u32_e32 vcc_lo, 0x40f, v46
	v_and_or_b32 v13, 0x8000, v17, v16
	s_delay_alu instid0(VALU_DEP_3) | instskip(SKIP_3) | instid1(VALU_DEP_3)
	v_and_or_b32 v6, 0x8000, v7, v6
	s_wait_alu 0xfffd
	v_cndmask_b32_e32 v18, v45, v18, vcc_lo
	v_cmp_eq_u32_e32 vcc_lo, 0x40f, v48
	v_and_b32_e32 v6, 0xffff, v6
	s_delay_alu instid0(VALU_DEP_3) | instskip(SKIP_3) | instid1(VALU_DEP_2)
	v_and_or_b32 v7, 0x8000, v19, v18
	s_wait_alu 0xfffd
	v_cndmask_b32_e32 v20, v47, v22, vcc_lo
	v_cmp_eq_u32_e32 vcc_lo, 0x40f, v50
	v_and_or_b32 v14, 0x8000, v23, v20
	s_wait_alu 0xfffd
	v_cndmask_b32_e32 v8, v49, v8, vcc_lo
	v_cmp_eq_u32_e32 vcc_lo, 0x40f, v52
	s_delay_alu instid0(VALU_DEP_2)
	v_and_or_b32 v8, 0x8000, v9, v8
	s_wait_alu 0xfffd
	v_cndmask_b32_e32 v22, v51, v26, vcc_lo
	v_cmp_eq_u32_e32 vcc_lo, 0x40f, v54
	v_and_b32_e32 v9, 0xffff, v12
	v_and_b32_e32 v12, 0xffff, v14
	s_delay_alu instid0(VALU_DEP_4)
	v_and_or_b32 v14, 0x8000, v27, v22
	s_wait_alu 0xfffd
	v_cndmask_b32_e32 v26, v53, v30, vcc_lo
	v_cmp_gt_i32_e32 vcc_lo, 31, v56
	v_lshl_or_b32 v9, v13, 16, v9
	v_lshl_or_b32 v13, v7, 16, v6
	v_lshrrev_b32_e32 v6, 2, v57
	v_lshl_or_b32 v8, v8, 16, v12
	s_wait_alu 0xfffd
	v_cndmask_b32_e32 v4, 0x7c00, v55, vcc_lo
	v_cmp_lt_i32_e32 vcc_lo, 5, v70
	v_lshrrev_b32_e32 v12, 16, v33
	v_and_b32_e32 v14, 0xffff, v14
	s_delay_alu instid0(VALU_DEP_4)
	v_cndmask_b32_e64 v7, v4, v5, s1
	s_or_b32 vcc_lo, s0, vcc_lo
	s_wait_alu 0xfffe
	v_add_co_ci_u32_e32 v4, vcc_lo, 0, v6, vcc_lo
	v_cmp_ne_u32_e32 vcc_lo, 0, v34
	v_and_or_b32 v7, 0x8000, v12, v7
	s_wait_alu 0xfffd
	v_cndmask_b32_e64 v6, 0, 1, vcc_lo
	v_cmp_gt_i32_e32 vcc_lo, 31, v58
	s_wait_alu 0xfffd
	v_cndmask_b32_e32 v15, 0x7c00, v4, vcc_lo
	v_mad_co_u64_u32 v[4:5], null, s25, v21, v[1:2]
	v_lshl_or_b32 v1, v6, 9, 0x7c00
	v_cmp_eq_u32_e32 vcc_lo, 0x40f, v58
	v_and_or_b32 v6, 0x8000, v31, v26
	s_wait_alu 0xfffd
	s_delay_alu instid0(VALU_DEP_3)
	v_dual_cndmask_b32 v12, v15, v1 :: v_dual_mov_b32 v1, v4
	v_lshrrev_b32_e32 v15, 16, v35
	v_add_co_u32 v4, vcc_lo, v2, v28
	s_wait_alu 0xfffd
	v_add_co_ci_u32_e32 v5, vcc_lo, v3, v29, vcc_lo
	v_lshlrev_b64_e32 v[0:1], 2, v[0:1]
	v_lshl_or_b32 v14, v6, 16, v14
	v_and_or_b32 v12, 0x8000, v15, v12
	v_and_b32_e32 v15, 0xffff, v7
	v_add_co_u32 v6, vcc_lo, v24, s22
	s_wait_alu 0xfffd
	v_add_co_ci_u32_e32 v7, vcc_lo, s23, v25, vcc_lo
	v_add_co_u32 v0, vcc_lo, v2, v0
	v_lshl_or_b32 v12, v12, 16, v15
	s_wait_alu 0xfffd
	v_add_co_ci_u32_e32 v1, vcc_lo, v3, v1, vcc_lo
	global_store_b32 v[10:11], v9, off
	global_store_b32 v[24:25], v13, off
	;; [unrolled: 1-line block ×5, first 2 shown]
.LBB0_15:
	s_nop 0
	s_sendmsg sendmsg(MSG_DEALLOC_VGPRS)
	s_endpgm
	.section	.rodata,"a",@progbits
	.p2align	6, 0x0
	.amdhsa_kernel bluestein_single_back_len120_dim1_half_op_CI_CI
		.amdhsa_group_segment_fixed_size 2400
		.amdhsa_private_segment_fixed_size 0
		.amdhsa_kernarg_size 104
		.amdhsa_user_sgpr_count 2
		.amdhsa_user_sgpr_dispatch_ptr 0
		.amdhsa_user_sgpr_queue_ptr 0
		.amdhsa_user_sgpr_kernarg_segment_ptr 1
		.amdhsa_user_sgpr_dispatch_id 0
		.amdhsa_user_sgpr_private_segment_size 0
		.amdhsa_wavefront_size32 1
		.amdhsa_uses_dynamic_stack 0
		.amdhsa_enable_private_segment 0
		.amdhsa_system_sgpr_workgroup_id_x 1
		.amdhsa_system_sgpr_workgroup_id_y 0
		.amdhsa_system_sgpr_workgroup_id_z 0
		.amdhsa_system_sgpr_workgroup_info 0
		.amdhsa_system_vgpr_workitem_id 0
		.amdhsa_next_free_vgpr 103
		.amdhsa_next_free_sgpr 28
		.amdhsa_reserve_vcc 1
		.amdhsa_float_round_mode_32 0
		.amdhsa_float_round_mode_16_64 0
		.amdhsa_float_denorm_mode_32 3
		.amdhsa_float_denorm_mode_16_64 3
		.amdhsa_fp16_overflow 0
		.amdhsa_workgroup_processor_mode 1
		.amdhsa_memory_ordered 1
		.amdhsa_forward_progress 0
		.amdhsa_round_robin_scheduling 0
		.amdhsa_exception_fp_ieee_invalid_op 0
		.amdhsa_exception_fp_denorm_src 0
		.amdhsa_exception_fp_ieee_div_zero 0
		.amdhsa_exception_fp_ieee_overflow 0
		.amdhsa_exception_fp_ieee_underflow 0
		.amdhsa_exception_fp_ieee_inexact 0
		.amdhsa_exception_int_div_zero 0
	.end_amdhsa_kernel
	.text
.Lfunc_end0:
	.size	bluestein_single_back_len120_dim1_half_op_CI_CI, .Lfunc_end0-bluestein_single_back_len120_dim1_half_op_CI_CI
                                        ; -- End function
	.section	.AMDGPU.csdata,"",@progbits
; Kernel info:
; codeLenInByte = 16324
; NumSgprs: 30
; NumVgprs: 103
; ScratchSize: 0
; MemoryBound: 0
; FloatMode: 240
; IeeeMode: 1
; LDSByteSize: 2400 bytes/workgroup (compile time only)
; SGPRBlocks: 3
; VGPRBlocks: 12
; NumSGPRsForWavesPerEU: 30
; NumVGPRsForWavesPerEU: 103
; Occupancy: 12
; WaveLimiterHint : 1
; COMPUTE_PGM_RSRC2:SCRATCH_EN: 0
; COMPUTE_PGM_RSRC2:USER_SGPR: 2
; COMPUTE_PGM_RSRC2:TRAP_HANDLER: 0
; COMPUTE_PGM_RSRC2:TGID_X_EN: 1
; COMPUTE_PGM_RSRC2:TGID_Y_EN: 0
; COMPUTE_PGM_RSRC2:TGID_Z_EN: 0
; COMPUTE_PGM_RSRC2:TIDIG_COMP_CNT: 0
	.text
	.p2alignl 7, 3214868480
	.fill 96, 4, 3214868480
	.type	__hip_cuid_3db2e6b7c8d910c1,@object ; @__hip_cuid_3db2e6b7c8d910c1
	.section	.bss,"aw",@nobits
	.globl	__hip_cuid_3db2e6b7c8d910c1
__hip_cuid_3db2e6b7c8d910c1:
	.byte	0                               ; 0x0
	.size	__hip_cuid_3db2e6b7c8d910c1, 1

	.ident	"AMD clang version 19.0.0git (https://github.com/RadeonOpenCompute/llvm-project roc-6.4.0 25133 c7fe45cf4b819c5991fe208aaa96edf142730f1d)"
	.section	".note.GNU-stack","",@progbits
	.addrsig
	.addrsig_sym __hip_cuid_3db2e6b7c8d910c1
	.amdgpu_metadata
---
amdhsa.kernels:
  - .args:
      - .actual_access:  read_only
        .address_space:  global
        .offset:         0
        .size:           8
        .value_kind:     global_buffer
      - .actual_access:  read_only
        .address_space:  global
        .offset:         8
        .size:           8
        .value_kind:     global_buffer
      - .actual_access:  read_only
        .address_space:  global
        .offset:         16
        .size:           8
        .value_kind:     global_buffer
      - .actual_access:  read_only
        .address_space:  global
        .offset:         24
        .size:           8
        .value_kind:     global_buffer
      - .actual_access:  read_only
        .address_space:  global
        .offset:         32
        .size:           8
        .value_kind:     global_buffer
      - .offset:         40
        .size:           8
        .value_kind:     by_value
      - .address_space:  global
        .offset:         48
        .size:           8
        .value_kind:     global_buffer
      - .address_space:  global
        .offset:         56
        .size:           8
        .value_kind:     global_buffer
      - .address_space:  global
        .offset:         64
        .size:           8
        .value_kind:     global_buffer
      - .address_space:  global
        .offset:         72
        .size:           8
        .value_kind:     global_buffer
      - .offset:         80
        .size:           4
        .value_kind:     by_value
      - .address_space:  global
        .offset:         88
        .size:           8
        .value_kind:     global_buffer
      - .address_space:  global
        .offset:         96
        .size:           8
        .value_kind:     global_buffer
    .group_segment_fixed_size: 2400
    .kernarg_segment_align: 8
    .kernarg_segment_size: 104
    .language:       OpenCL C
    .language_version:
      - 2
      - 0
    .max_flat_workgroup_size: 60
    .name:           bluestein_single_back_len120_dim1_half_op_CI_CI
    .private_segment_fixed_size: 0
    .sgpr_count:     30
    .sgpr_spill_count: 0
    .symbol:         bluestein_single_back_len120_dim1_half_op_CI_CI.kd
    .uniform_work_group_size: 1
    .uses_dynamic_stack: false
    .vgpr_count:     103
    .vgpr_spill_count: 0
    .wavefront_size: 32
    .workgroup_processor_mode: 1
amdhsa.target:   amdgcn-amd-amdhsa--gfx1201
amdhsa.version:
  - 1
  - 2
...

	.end_amdgpu_metadata
